;; amdgpu-corpus repo=ROCm/rocFFT kind=compiled arch=gfx950 opt=O3
	.text
	.amdgcn_target "amdgcn-amd-amdhsa--gfx950"
	.amdhsa_code_object_version 6
	.protected	fft_rtc_back_len561_factors_17_3_11_wgs_255_tpt_51_halfLds_sp_ip_CI_sbrr_dirReg ; -- Begin function fft_rtc_back_len561_factors_17_3_11_wgs_255_tpt_51_halfLds_sp_ip_CI_sbrr_dirReg
	.globl	fft_rtc_back_len561_factors_17_3_11_wgs_255_tpt_51_halfLds_sp_ip_CI_sbrr_dirReg
	.p2align	8
	.type	fft_rtc_back_len561_factors_17_3_11_wgs_255_tpt_51_halfLds_sp_ip_CI_sbrr_dirReg,@function
fft_rtc_back_len561_factors_17_3_11_wgs_255_tpt_51_halfLds_sp_ip_CI_sbrr_dirReg: ; @fft_rtc_back_len561_factors_17_3_11_wgs_255_tpt_51_halfLds_sp_ip_CI_sbrr_dirReg
; %bb.0:
	s_load_dwordx2 s[12:13], s[0:1], 0x18
	s_load_dwordx4 s[4:7], s[0:1], 0x0
	s_load_dwordx2 s[10:11], s[0:1], 0x50
	v_mul_u32_u24_e32 v1, 0x506, v0
	v_lshrrev_b32_e32 v2, 16, v1
	s_waitcnt lgkmcnt(0)
	s_load_dwordx2 s[8:9], s[12:13], 0x0
	v_mad_u64_u32 v[16:17], s[2:3], s2, 5, v[2:3]
	v_mov_b32_e32 v4, 0
	v_mov_b32_e32 v17, v4
	v_cmp_lt_u64_e64 s[2:3], s[6:7], 2
	s_and_b64 vcc, exec, s[2:3]
	v_mov_b64_e32 v[2:3], 0
	v_mov_b64_e32 v[8:9], v[16:17]
	s_cbranch_vccnz .LBB0_8
; %bb.1:
	s_load_dwordx2 s[2:3], s[0:1], 0x10
	s_add_u32 s14, s12, 8
	s_addc_u32 s15, s13, 0
	s_mov_b64 s[16:17], 1
	v_mov_b64_e32 v[2:3], 0
	s_waitcnt lgkmcnt(0)
	s_add_u32 s18, s2, 8
	s_addc_u32 s19, s3, 0
	v_mov_b64_e32 v[6:7], v[16:17]
.LBB0_2:                                ; =>This Inner Loop Header: Depth=1
	s_load_dwordx2 s[20:21], s[18:19], 0x0
                                        ; implicit-def: $vgpr8_vgpr9
	s_waitcnt lgkmcnt(0)
	v_or_b32_e32 v5, s21, v7
	v_cmp_ne_u64_e32 vcc, 0, v[4:5]
	s_and_saveexec_b64 s[2:3], vcc
	s_xor_b64 s[22:23], exec, s[2:3]
	s_cbranch_execz .LBB0_4
; %bb.3:                                ;   in Loop: Header=BB0_2 Depth=1
	v_cvt_f32_u32_e32 v1, s20
	v_cvt_f32_u32_e32 v5, s21
	s_sub_u32 s2, 0, s20
	s_subb_u32 s3, 0, s21
	v_fmac_f32_e32 v1, 0x4f800000, v5
	v_rcp_f32_e32 v1, v1
	s_nop 0
	v_mul_f32_e32 v1, 0x5f7ffffc, v1
	v_mul_f32_e32 v5, 0x2f800000, v1
	v_trunc_f32_e32 v5, v5
	v_fmac_f32_e32 v1, 0xcf800000, v5
	v_cvt_u32_f32_e32 v5, v5
	v_cvt_u32_f32_e32 v1, v1
	v_mul_lo_u32 v8, s2, v5
	v_mul_hi_u32 v10, s2, v1
	v_mul_lo_u32 v9, s3, v1
	v_add_u32_e32 v10, v10, v8
	v_mul_lo_u32 v12, s2, v1
	v_add_u32_e32 v13, v10, v9
	v_mul_hi_u32 v8, v1, v12
	v_mul_hi_u32 v11, v1, v13
	v_mul_lo_u32 v10, v1, v13
	v_mov_b32_e32 v9, v4
	v_lshl_add_u64 v[8:9], v[8:9], 0, v[10:11]
	v_mul_hi_u32 v11, v5, v12
	v_mul_lo_u32 v12, v5, v12
	v_add_co_u32_e32 v8, vcc, v8, v12
	v_mul_hi_u32 v10, v5, v13
	s_nop 0
	v_addc_co_u32_e32 v8, vcc, v9, v11, vcc
	v_mov_b32_e32 v9, v4
	s_nop 0
	v_addc_co_u32_e32 v11, vcc, 0, v10, vcc
	v_mul_lo_u32 v10, v5, v13
	v_lshl_add_u64 v[8:9], v[8:9], 0, v[10:11]
	v_add_co_u32_e32 v1, vcc, v1, v8
	v_mul_lo_u32 v10, s2, v1
	s_nop 0
	v_addc_co_u32_e32 v5, vcc, v5, v9, vcc
	v_mul_lo_u32 v8, s2, v5
	v_mul_hi_u32 v9, s2, v1
	v_add_u32_e32 v8, v9, v8
	v_mul_lo_u32 v9, s3, v1
	v_add_u32_e32 v12, v8, v9
	v_mul_hi_u32 v14, v5, v10
	v_mul_lo_u32 v15, v5, v10
	v_mul_hi_u32 v9, v1, v12
	v_mul_lo_u32 v8, v1, v12
	v_mul_hi_u32 v10, v1, v10
	v_mov_b32_e32 v11, v4
	v_lshl_add_u64 v[8:9], v[10:11], 0, v[8:9]
	v_add_co_u32_e32 v8, vcc, v8, v15
	v_mul_hi_u32 v13, v5, v12
	s_nop 0
	v_addc_co_u32_e32 v8, vcc, v9, v14, vcc
	v_mul_lo_u32 v10, v5, v12
	s_nop 0
	v_addc_co_u32_e32 v11, vcc, 0, v13, vcc
	v_mov_b32_e32 v9, v4
	v_lshl_add_u64 v[8:9], v[8:9], 0, v[10:11]
	v_add_co_u32_e32 v1, vcc, v1, v8
	v_mul_hi_u32 v10, v6, v1
	s_nop 0
	v_addc_co_u32_e32 v5, vcc, v5, v9, vcc
	v_mad_u64_u32 v[8:9], s[2:3], v6, v5, 0
	v_mov_b32_e32 v11, v4
	v_lshl_add_u64 v[8:9], v[10:11], 0, v[8:9]
	v_mad_u64_u32 v[12:13], s[2:3], v7, v1, 0
	v_add_co_u32_e32 v1, vcc, v8, v12
	v_mad_u64_u32 v[10:11], s[2:3], v7, v5, 0
	s_nop 0
	v_addc_co_u32_e32 v8, vcc, v9, v13, vcc
	v_mov_b32_e32 v9, v4
	s_nop 0
	v_addc_co_u32_e32 v11, vcc, 0, v11, vcc
	v_lshl_add_u64 v[8:9], v[8:9], 0, v[10:11]
	v_mul_lo_u32 v1, s21, v8
	v_mul_lo_u32 v5, s20, v9
	v_mad_u64_u32 v[10:11], s[2:3], s20, v8, 0
	v_add3_u32 v1, v11, v5, v1
	v_sub_u32_e32 v5, v7, v1
	v_mov_b32_e32 v11, s21
	v_sub_co_u32_e32 v14, vcc, v6, v10
	v_lshl_add_u64 v[12:13], v[8:9], 0, 1
	s_nop 0
	v_subb_co_u32_e64 v5, s[2:3], v5, v11, vcc
	v_subrev_co_u32_e64 v10, s[2:3], s20, v14
	v_subb_co_u32_e32 v1, vcc, v7, v1, vcc
	s_nop 0
	v_subbrev_co_u32_e64 v5, s[2:3], 0, v5, s[2:3]
	v_cmp_le_u32_e64 s[2:3], s21, v5
	v_cmp_le_u32_e32 vcc, s21, v1
	s_nop 0
	v_cndmask_b32_e64 v11, 0, -1, s[2:3]
	v_cmp_le_u32_e64 s[2:3], s20, v10
	s_nop 1
	v_cndmask_b32_e64 v10, 0, -1, s[2:3]
	v_cmp_eq_u32_e64 s[2:3], s21, v5
	s_nop 1
	v_cndmask_b32_e64 v5, v11, v10, s[2:3]
	v_lshl_add_u64 v[10:11], v[8:9], 0, 2
	v_cmp_ne_u32_e64 s[2:3], 0, v5
	s_nop 1
	v_cndmask_b32_e64 v5, v13, v11, s[2:3]
	v_cndmask_b32_e64 v11, 0, -1, vcc
	v_cmp_le_u32_e32 vcc, s20, v14
	s_nop 1
	v_cndmask_b32_e64 v13, 0, -1, vcc
	v_cmp_eq_u32_e32 vcc, s21, v1
	s_nop 1
	v_cndmask_b32_e32 v1, v11, v13, vcc
	v_cmp_ne_u32_e32 vcc, 0, v1
	v_cndmask_b32_e64 v1, v12, v10, s[2:3]
	s_nop 0
	v_cndmask_b32_e32 v9, v9, v5, vcc
	v_cndmask_b32_e32 v8, v8, v1, vcc
.LBB0_4:                                ;   in Loop: Header=BB0_2 Depth=1
	s_andn2_saveexec_b64 s[2:3], s[22:23]
	s_cbranch_execz .LBB0_6
; %bb.5:                                ;   in Loop: Header=BB0_2 Depth=1
	v_cvt_f32_u32_e32 v1, s20
	s_sub_i32 s22, 0, s20
	v_rcp_iflag_f32_e32 v1, v1
	s_nop 0
	v_mul_f32_e32 v1, 0x4f7ffffe, v1
	v_cvt_u32_f32_e32 v1, v1
	v_mul_lo_u32 v5, s22, v1
	v_mul_hi_u32 v5, v1, v5
	v_add_u32_e32 v1, v1, v5
	v_mul_hi_u32 v1, v6, v1
	v_mul_lo_u32 v5, v1, s20
	v_sub_u32_e32 v5, v6, v5
	v_add_u32_e32 v8, 1, v1
	v_subrev_u32_e32 v9, s20, v5
	v_cmp_le_u32_e32 vcc, s20, v5
	s_nop 1
	v_cndmask_b32_e32 v5, v5, v9, vcc
	v_cndmask_b32_e32 v1, v1, v8, vcc
	v_add_u32_e32 v8, 1, v1
	v_cmp_le_u32_e32 vcc, s20, v5
	v_mov_b32_e32 v9, v4
	s_nop 0
	v_cndmask_b32_e32 v8, v1, v8, vcc
.LBB0_6:                                ;   in Loop: Header=BB0_2 Depth=1
	s_or_b64 exec, exec, s[2:3]
	v_mad_u64_u32 v[10:11], s[2:3], v8, s20, 0
	s_load_dwordx2 s[2:3], s[14:15], 0x0
	v_mul_lo_u32 v1, v9, s20
	v_mul_lo_u32 v5, v8, s21
	v_add3_u32 v1, v11, v5, v1
	v_sub_co_u32_e32 v5, vcc, v6, v10
	s_add_u32 s16, s16, 1
	s_nop 0
	v_subb_co_u32_e32 v1, vcc, v7, v1, vcc
	s_addc_u32 s17, s17, 0
	s_waitcnt lgkmcnt(0)
	v_mul_lo_u32 v1, s2, v1
	v_mul_lo_u32 v6, s3, v5
	v_mad_u64_u32 v[2:3], s[2:3], s2, v5, v[2:3]
	s_add_u32 s14, s14, 8
	v_add3_u32 v3, v6, v3, v1
	s_addc_u32 s15, s15, 0
	v_mov_b64_e32 v[6:7], s[6:7]
	s_add_u32 s18, s18, 8
	v_cmp_ge_u64_e32 vcc, s[16:17], v[6:7]
	s_addc_u32 s19, s19, 0
	s_cbranch_vccnz .LBB0_8
; %bb.7:                                ;   in Loop: Header=BB0_2 Depth=1
	v_mov_b64_e32 v[6:7], v[8:9]
	s_branch .LBB0_2
.LBB0_8:
	s_lshl_b64 s[2:3], s[6:7], 3
	s_add_u32 s2, s12, s2
	s_addc_u32 s3, s13, s3
	s_load_dwordx2 s[6:7], s[2:3], 0x0
	s_load_dwordx2 s[12:13], s[0:1], 0x20
	v_mov_b32_e32 v25, 0
	v_mov_b32_e32 v119, 0
	;; [unrolled: 1-line block ×3, first 2 shown]
	s_waitcnt lgkmcnt(0)
	v_mad_u64_u32 v[2:3], s[0:1], s6, v8, v[2:3]
	v_mul_lo_u32 v1, s6, v9
	v_mul_lo_u32 v4, s7, v8
	s_mov_b32 s0, 0x5050506
	v_add3_u32 v3, v4, v3, v1
	v_mul_hi_u32 v1, v0, s0
	v_mul_u32_u24_e32 v1, 51, v1
	v_cmp_gt_u64_e32 vcc, s[12:13], v[8:9]
	v_sub_u32_e32 v118, v0, v1
                                        ; implicit-def: $vgpr72
                                        ; implicit-def: $vgpr6
                                        ; implicit-def: $vgpr10
                                        ; implicit-def: $vgpr4
                                        ; implicit-def: $vgpr36
                                        ; implicit-def: $vgpr0
                                        ; implicit-def: $vgpr48
                                        ; implicit-def: $vgpr20
                                        ; implicit-def: $vgpr50
                                        ; implicit-def: $vgpr18
                                        ; implicit-def: $vgpr52
                                        ; implicit-def: $vgpr14
                                        ; implicit-def: $vgpr54
                                        ; implicit-def: $vgpr12
                                        ; implicit-def: $vgpr26
                                        ; implicit-def: $vgpr8
	s_and_saveexec_b64 s[2:3], vcc
	s_cbranch_execz .LBB0_12
; %bb.9:
	v_cmp_gt_u32_e64 s[0:1], 33, v118
	v_mov_b32_e32 v34, 0
	v_mov_b32_e32 v25, 0
                                        ; implicit-def: $vgpr9
                                        ; implicit-def: $vgpr27
                                        ; implicit-def: $vgpr13
                                        ; implicit-def: $vgpr55
                                        ; implicit-def: $vgpr15
                                        ; implicit-def: $vgpr53
                                        ; implicit-def: $vgpr19
                                        ; implicit-def: $vgpr51
                                        ; implicit-def: $vgpr21
                                        ; implicit-def: $vgpr49
                                        ; implicit-def: $vgpr1
                                        ; implicit-def: $vgpr37
                                        ; implicit-def: $vgpr5
                                        ; implicit-def: $vgpr11
                                        ; implicit-def: $vgpr7
                                        ; implicit-def: $vgpr72
	s_and_saveexec_b64 s[6:7], s[0:1]
	s_cbranch_execz .LBB0_11
; %bb.10:
	v_mad_u64_u32 v[0:1], s[0:1], s8, v118, 0
	v_mov_b32_e32 v4, v1
	v_mad_u64_u32 v[4:5], s[0:1], s9, v118, v[4:5]
	v_add_u32_e32 v7, 33, v118
	v_mov_b32_e32 v1, v4
	v_mad_u64_u32 v[4:5], s[0:1], s8, v7, 0
	v_mov_b32_e32 v6, v5
	v_mad_u64_u32 v[6:7], s[0:1], s9, v7, v[6:7]
	v_lshl_add_u64 v[8:9], v[2:3], 3, s[10:11]
	v_mov_b32_e32 v5, v6
	v_lshl_add_u64 v[0:1], v[0:1], 3, v[8:9]
	v_lshl_add_u64 v[4:5], v[4:5], 3, v[8:9]
	global_load_dwordx2 v[34:35], v[0:1], off
	global_load_dwordx2 v[26:27], v[4:5], off
	v_add_u32_e32 v5, 0x42, v118
	v_mad_u64_u32 v[0:1], s[0:1], s8, v5, 0
	v_mov_b32_e32 v4, v1
	v_mad_u64_u32 v[4:5], s[0:1], s9, v5, v[4:5]
	v_mov_b32_e32 v1, v4
	v_add_u32_e32 v5, 0x63, v118
	v_lshl_add_u64 v[22:23], v[0:1], 3, v[8:9]
	v_mad_u64_u32 v[0:1], s[0:1], s8, v5, 0
	v_mov_b32_e32 v4, v1
	v_mad_u64_u32 v[4:5], s[0:1], s9, v5, v[4:5]
	v_mov_b32_e32 v1, v4
	v_add_u32_e32 v5, 0x84, v118
	v_lshl_add_u64 v[24:25], v[0:1], 3, v[8:9]
	;; [unrolled: 6-line block ×10, first 2 shown]
	global_load_dwordx2 v[6:7], v[10:11], off
	global_load_dwordx2 v[72:73], v[28:29], off
	;; [unrolled: 1-line block ×4, first 2 shown]
	v_mad_u64_u32 v[10:11], s[0:1], s8, v17, 0
	v_mov_b32_e32 v28, v11
	v_mad_u64_u32 v[28:29], s[0:1], s9, v17, v[28:29]
	v_mov_b32_e32 v11, v28
	v_add_u32_e32 v17, 0x1ad, v118
	v_lshl_add_u64 v[28:29], v[10:11], 3, v[8:9]
	v_mad_u64_u32 v[10:11], s[0:1], s8, v17, 0
	v_mov_b32_e32 v30, v11
	v_mad_u64_u32 v[30:31], s[0:1], s9, v17, v[30:31]
	v_mov_b32_e32 v11, v30
	v_lshl_add_u64 v[30:31], v[10:11], 3, v[8:9]
	global_load_dwordx2 v[10:11], v[20:21], off
	global_load_dwordx2 v[36:37], v[18:19], off
	;; [unrolled: 1-line block ×4, first 2 shown]
	v_add_u32_e32 v15, 0x1ce, v118
	v_mad_u64_u32 v[12:13], s[0:1], s8, v15, 0
	v_mov_b32_e32 v14, v13
	v_mad_u64_u32 v[14:15], s[0:1], s9, v15, v[14:15]
	v_mov_b32_e32 v13, v14
	v_add_u32_e32 v15, 0x1ef, v118
	v_lshl_add_u64 v[32:33], v[12:13], 3, v[8:9]
	v_mad_u64_u32 v[12:13], s[0:1], s8, v15, 0
	v_mov_b32_e32 v14, v13
	v_mad_u64_u32 v[14:15], s[0:1], s9, v15, v[14:15]
	v_mov_b32_e32 v13, v14
	v_add_u32_e32 v17, 0x210, v118
	v_lshl_add_u64 v[38:39], v[12:13], 3, v[8:9]
	global_load_dwordx2 v[52:53], v[24:25], off
	global_load_dwordx2 v[54:55], v[22:23], off
	;; [unrolled: 1-line block ×6, first 2 shown]
	v_mad_u64_u32 v[22:23], s[0:1], s8, v17, 0
	v_mov_b32_e32 v24, v23
	v_mad_u64_u32 v[24:25], s[0:1], s9, v17, v[24:25]
	v_mov_b32_e32 v23, v24
	v_lshl_add_u64 v[8:9], v[22:23], 3, v[8:9]
	global_load_dwordx2 v[8:9], v[8:9], off
	s_waitcnt vmcnt(16)
	v_mov_b32_e32 v25, v35
	s_waitcnt vmcnt(13)
	v_mov_b32_e32 v24, v73
.LBB0_11:
	s_or_b64 exec, exec, s[6:7]
	v_mov_b32_e32 v119, v118
.LBB0_12:
	s_or_b64 exec, exec, s[2:3]
	s_mov_b32 s0, 0xcccccccd
	v_mul_hi_u32 v17, v16, s0
	v_lshrrev_b32_e32 v17, 2, v17
	s_waitcnt vmcnt(0)
	v_pk_add_f32 v[28:29], v[26:27], v[8:9] neg_lo:[0,1] neg_hi:[0,1]
	s_mov_b32 s6, 0xbf59a7d5
	s_mov_b32 s12, 0xbf06c442
	;; [unrolled: 1-line block ×3, first 2 shown]
	v_lshl_add_u32 v17, v17, 2, v17
	v_pk_add_f32 v[70:71], v[26:27], v[8:9]
	v_pk_add_f32 v[30:31], v[54:55], v[12:13] neg_lo:[0,1] neg_hi:[0,1]
	s_mov_b32 s7, 0xbf1a4643
	s_mov_b32 s14, 0x3ee437d1
	;; [unrolled: 1-line block ×3, first 2 shown]
	v_pk_mul_f32 v[74:75], v[28:29], s[12:13] op_sel:[1,0]
	s_mov_b32 s21, 0x3f763a35
	v_sub_u32_e32 v90, v16, v17
	v_pk_add_f32 v[56:57], v[54:55], v[12:13]
	s_mov_b32 s2, 0x3dbcf732
	v_pk_add_f32 v[32:33], v[52:53], v[14:15] neg_lo:[0,1] neg_hi:[0,1]
	s_mov_b32 s15, 0xbe8c1d8e
	v_pk_fma_f32 v[16:17], v[70:71], s[6:7], v[74:75] op_sel_hi:[0,1,1] neg_lo:[0,0,1] neg_hi:[0,0,1]
	v_pk_mul_f32 v[76:77], v[30:31], s[20:21] op_sel:[1,0]
	s_mov_b32 s29, 0xbeb8f4ab
	s_mov_b32 s28, 0xbf7ee86f
	;; [unrolled: 1-line block ×3, first 2 shown]
	v_pk_add_f32 v[58:59], v[52:53], v[14:15]
	v_pk_add_f32 v[16:17], v[34:35], v[16:17] op_sel_hi:[0,1]
	v_pk_fma_f32 v[22:23], v[56:57], s[14:15], v[76:77] op_sel_hi:[0,1,1] neg_lo:[0,0,1] neg_hi:[0,0,1]
	v_pk_mul_f32 v[78:79], v[32:33], s[28:29] op_sel:[1,0]
	v_pk_add_f32 v[38:39], v[50:51], v[18:19] neg_lo:[0,1] neg_hi:[0,1]
	s_mov_b32 s18, 0x3f4c4adb
	s_mov_b32 s19, s12
	v_pk_add_f32 v[16:17], v[16:17], v[22:23]
	v_pk_fma_f32 v[22:23], v[58:59], s[2:3], v[78:79] op_sel_hi:[0,1,1] neg_lo:[0,0,1] neg_hi:[0,0,1]
	s_mov_b32 s38, s7
	s_mov_b32 s39, s6
	v_pk_add_f32 v[62:63], v[50:51], v[18:19]
	v_pk_mul_f32 v[80:81], v[38:39], s[18:19] op_sel:[1,0]
	s_mov_b32 s25, 0x3f7ee86f
	s_mov_b32 s24, s29
	v_pk_add_f32 v[40:41], v[48:49], v[20:21] neg_lo:[0,1] neg_hi:[0,1]
	v_pk_add_f32 v[16:17], v[16:17], v[22:23]
	v_pk_fma_f32 v[22:23], v[62:63], s[38:39], v[80:81] op_sel_hi:[0,1,1] neg_lo:[0,0,1] neg_hi:[0,0,1]
	s_mov_b32 s40, s3
	s_mov_b32 s41, s2
	v_pk_add_f32 v[64:65], v[48:49], v[20:21]
	v_pk_mul_f32 v[82:83], v[40:41], s[24:25] op_sel:[1,0]
	s_mov_b32 s22, 0xbf7ba420
	s_mov_b32 s30, 0xbe3c28d5
	;; [unrolled: 1-line block ×3, first 2 shown]
	v_pk_add_f32 v[44:45], v[36:37], v[0:1] neg_lo:[0,1] neg_hi:[0,1]
	v_pk_add_f32 v[16:17], v[16:17], v[22:23]
	v_pk_fma_f32 v[22:23], v[64:65], s[40:41], v[82:83] op_sel_hi:[0,1,1] neg_lo:[0,0,1] neg_hi:[0,0,1]
	s_mov_b32 s23, 0x3f3d2fb0
	v_pk_add_f32 v[66:67], v[36:37], v[0:1]
	v_pk_mul_f32 v[84:85], v[44:45], s[30:31] op_sel:[1,0]
	s_mov_b32 s26, 0x3f2c7751
	s_mov_b32 s27, s30
	v_pk_add_f32 v[42:43], v[10:11], v[4:5] neg_lo:[0,1] neg_hi:[0,1]
	v_mov_b32_e32 v73, v24
	v_pk_add_f32 v[16:17], v[16:17], v[22:23]
	v_pk_fma_f32 v[22:23], v[66:67], s[22:23], v[84:85] op_sel_hi:[0,1,1] neg_lo:[0,0,1] neg_hi:[0,0,1]
	s_mov_b32 s42, s23
	s_mov_b32 s43, s22
	v_pk_add_f32 v[68:69], v[10:11], v[4:5]
	v_pk_mul_f32 v[86:87], v[42:43], s[26:27] op_sel:[1,0]
	s_mov_b32 s34, 0xbf763a35
	s_mov_b32 s35, s20
	v_pk_add_f32 v[46:47], v[6:7], v[72:73] neg_lo:[0,1] neg_hi:[0,1]
	v_pk_add_f32 v[16:17], v[16:17], v[22:23]
	v_pk_fma_f32 v[22:23], v[68:69], s[42:43], v[86:87] op_sel_hi:[0,1,1] neg_lo:[0,0,1] neg_hi:[0,0,1]
	s_mov_b32 s44, s15
	s_mov_b32 s45, s14
	v_pk_add_f32 v[60:61], v[6:7], v[72:73]
	v_pk_mul_f32 v[88:89], v[46:47], s[34:35] op_sel:[1,0]
	v_pk_add_f32 v[16:17], v[16:17], v[22:23]
	v_pk_fma_f32 v[22:23], v[60:61], s[44:45], v[88:89] op_sel_hi:[0,1,1] neg_lo:[0,0,1] neg_hi:[0,0,1]
	v_pk_add_f32 v[22:23], v[16:17], v[22:23]
	v_mul_f32_e32 v17, 0xbe3c28d5, v29
	v_fma_f32 v16, v70, s22, -v17
	v_mul_f32_e32 v122, 0x3eb8f4ab, v31
	v_add_f32_e32 v16, v34, v16
	v_fma_f32 v35, v56, s3, -v122
	v_mul_f32_e32 v114, 0xbf06c442, v33
	v_add_f32_e32 v16, v16, v35
	;; [unrolled: 3-line block ×7, first 2 shown]
	v_mul_u32_u24_e32 v35, 0x231, v90
	v_fma_f32 v73, v60, s2, -v123
	s_mov_b32 s36, 0x3eb8f4ab
	v_add_f32_e32 v16, v16, v73
	v_cmp_gt_u32_e64 s[0:1], 33, v118
	v_lshlrev_b32_e32 v120, 2, v35
	s_and_saveexec_b64 s[16:17], s[0:1]
	s_cbranch_execz .LBB0_14
; %bb.13:
	v_mov_b32_e32 v106, v31
	v_mov_b32_e32 v107, v56
	s_mov_b32 s37, 0xbf65296c
	s_mov_b32 s48, s31
	;; [unrolled: 1-line block ×3, first 2 shown]
	v_mov_b32_e32 v104, v33
	v_mov_b32_e32 v105, v58
	v_pk_mul_f32 v[90:91], v[106:107], s[48:49]
	s_mov_b32 s50, s37
	s_mov_b32 s51, s14
	v_pk_mul_f32 v[92:93], v[104:105], s[50:51]
	v_mov_b32_e32 v35, v90
	v_pk_fma_f32 v[106:107], v[106:107], s[48:49], v[34:35]
	v_mov_b32_e32 v35, v92
	v_pk_fma_f32 v[104:105], v[104:105], s[50:51], v[34:35]
	v_mov_b32_e32 v102, v39
	v_mov_b32_e32 v104, v34
	v_pk_add_f32 v[128:129], v[104:105], v[26:27]
	v_mov_b32_e32 v103, v62
	v_pk_add_f32 v[128:129], v[128:129], v[54:55]
	s_mov_b32 s19, s29
	v_pk_add_f32 v[128:129], v[128:129], v[52:53]
	s_mov_b32 s47, s29
	;; [unrolled: 2-line block ×3, first 2 shown]
	v_pk_add_f32 v[128:129], v[128:129], v[48:49]
	v_mov_b32_e32 v98, v41
	v_mov_b32_e32 v99, v64
	v_pk_mul_f32 v[94:95], v[102:103], s[28:29]
	s_mov_b32 s35, s15
	v_pk_add_f32 v[128:129], v[128:129], v[36:37]
	v_pk_mul_f32 v[96:97], v[98:99], s[34:35]
	v_mov_b32_e32 v35, v94
	v_pk_add_f32 v[128:129], v[128:129], v[10:11]
	v_mul_f32_e32 v10, 0xbeb8f4ab, v29
	v_mov_b32_e32 v100, v45
	v_mov_b32_e32 v101, v66
	s_mov_b32 s52, s13
	s_mov_b32 s53, s7
	v_pk_fma_f32 v[108:109], v[102:103], s[28:29], v[34:35]
	v_mov_b32_e32 v35, v96
	v_mov_b32_e32 v129, v10
	v_mul_f32_e32 v131, 0x3f6eb680, v70
	v_mov_b32_e32 v130, v6
	v_pk_fma_f32 v[110:111], v[98:99], s[34:35], v[34:35]
	v_pk_mul_f32 v[98:99], v[100:101], s[52:53]
	v_mov_b32_e32 v73, v34
	v_pk_add_f32 v[128:129], v[128:129], v[130:131]
	v_mov_b32_e32 v35, v98
	v_mov_b32_e32 v102, v43
	;; [unrolled: 1-line block ×3, first 2 shown]
	s_mov_b32 s27, s13
	s_mov_b32 s55, s13
	;; [unrolled: 1-line block ×3, first 2 shown]
	v_pk_add_f32 v[72:73], v[128:129], v[72:73]
	v_mov_b32_e32 v106, v4
	v_pk_fma_f32 v[112:113], v[100:101], s[52:53], v[34:35]
	v_pk_mul_f32 v[100:101], v[102:103], s[12:13]
	v_pk_add_f32 v[72:73], v[106:107], v[72:73]
	v_mov_b32_e32 v104, v0
	v_mov_b32_e32 v35, v100
	;; [unrolled: 1-line block ×4, first 2 shown]
	s_mov_b32 s56, s31
	s_mov_b32 s31, s22
	v_pk_add_f32 v[72:73], v[104:105], v[72:73]
	v_mov_b32_e32 v108, v20
	v_pk_fma_f32 v[124:125], v[102:103], s[12:13], v[34:35]
	v_pk_mul_f32 v[102:103], v[126:127], s[30:31]
	v_pk_add_f32 v[72:73], v[108:109], v[72:73]
	v_mov_b32_e32 v110, v18
	v_mov_b32_e32 v35, v102
	v_pk_add_f32 v[72:73], v[110:111], v[72:73]
	v_mov_b32_e32 v112, v14
	v_pk_fma_f32 v[126:127], v[126:127], s[30:31], v[34:35]
	v_pk_add_f32 v[104:105], v[112:113], v[72:73]
	v_mov_b32_e32 v124, v12
	v_mov_b32_e32 v110, v29
	;; [unrolled: 1-line block ×3, first 2 shown]
	s_mov_b32 s57, s37
	v_mov_b32_e32 v72, v70
	v_mov_b32_e32 v73, v70
	v_pk_add_f32 v[104:105], v[124:125], v[104:105]
	v_mov_b32_e32 v126, v8
	v_mul_u32_u24_e32 v0, 0x44, v118
	s_mov_b32 s48, s23
	s_mov_b32 s49, s14
	v_pk_mul_f32 v[106:107], v[110:111], s[56:57]
	v_mov_b32_e32 v35, v34
	v_pk_add_f32 v[104:105], v[126:127], v[104:105]
	v_add3_u32 v4, 0, v0, v120
	v_mov_b32_e32 v112, v31
	v_mov_b32_e32 v113, v31
	s_mov_b32 s54, s28
	v_pk_fma_f32 v[108:109], v[72:73], s[48:49], v[106:107]
	ds_write2_b32 v4, v104, v105 offset1:1
	v_mov_b32_e32 v104, v56
	v_mov_b32_e32 v105, v56
	s_mov_b32 s50, s2
	s_mov_b32 s51, s7
	v_pk_add_f32 v[124:125], v[34:35], v[108:109]
	v_pk_mul_f32 v[108:109], v[112:113], s[54:55]
	s_mov_b32 s53, 0x3e3c28d5
	v_pk_fma_f32 v[126:127], v[104:105], s[50:51], v[108:109]
	s_mov_b32 s29, 0x3f06c442
	v_pk_add_f32 v[124:125], v[124:125], v[126:127]
	v_pk_mul_f32 v[126:127], v[70:71], s[6:7] op_sel_hi:[0,1]
	v_pk_add_f32 v[74:75], v[74:75], v[126:127]
	v_pk_mul_f32 v[126:127], v[56:57], s[14:15] op_sel_hi:[0,1]
	v_pk_add_f32 v[76:77], v[76:77], v[126:127]
	v_pk_add_f32 v[74:75], v[34:35], v[74:75]
	v_mov_b32_e32 v130, v45
	v_pk_add_f32 v[74:75], v[74:75], v[76:77]
	v_pk_mul_f32 v[76:77], v[58:59], s[2:3] op_sel_hi:[0,1]
	v_pk_add_f32 v[76:77], v[78:79], v[76:77]
	v_mov_b32_e32 v78, v58
	v_pk_add_f32 v[74:75], v[74:75], v[76:77]
	v_pk_mul_f32 v[76:77], v[62:63], s[38:39] op_sel_hi:[0,1]
	;; [unrolled: 4-line block ×5, first 2 shown]
	v_pk_add_f32 v[76:77], v[86:87], v[76:77]
	s_mov_b32 s38, s7
	v_pk_add_f32 v[74:75], v[74:75], v[76:77]
	v_pk_mul_f32 v[76:77], v[60:61], s[44:45] op_sel_hi:[0,1]
	v_pk_add_f32 v[76:77], v[88:89], v[76:77]
	s_mov_b32 s39, s22
	v_pk_add_f32 v[74:75], v[74:75], v[76:77]
	ds_write2_b32 v4, v75, v74 offset0:6 offset1:7
	v_pk_mul_f32 v[74:75], v[80:81], s[52:53]
	v_mov_b32_e32 v84, v39
	v_mov_b32_e32 v85, v39
	s_mov_b32 s42, s30
	s_mov_b32 s43, s21
	v_pk_fma_f32 v[76:77], v[78:79], s[38:39], v[74:75]
	v_mov_b32_e32 v82, v62
	v_mov_b32_e32 v83, v62
	s_mov_b32 s40, s22
	s_mov_b32 s41, s15
	v_pk_mul_f32 v[86:87], v[84:85], s[42:43]
	v_pk_add_f32 v[76:77], v[124:125], v[76:77]
	v_pk_fma_f32 v[88:89], v[82:83], s[40:41], v[86:87]
	v_mov_b32_e32 v124, v41
	v_mov_b32_e32 v125, v41
	s_mov_b32 s44, s29
	s_mov_b32 s45, s26
	v_pk_add_f32 v[76:77], v[76:77], v[88:89]
	v_mov_b32_e32 v88, v64
	v_mov_b32_e32 v89, v64
	s_mov_b32 s42, s6
	s_mov_b32 s43, s23
	v_pk_mul_f32 v[126:127], v[124:125], s[44:45]
	v_mov_b32_e32 v131, v45
	v_pk_fma_f32 v[128:129], v[88:89], s[42:43], v[126:127]
	s_mov_b32 s46, s21
	v_pk_add_f32 v[76:77], v[76:77], v[128:129]
	v_mov_b32_e32 v128, v66
	v_mov_b32_e32 v129, v66
	s_mov_b32 s44, s15
	s_mov_b32 s45, s3
	v_pk_mul_f32 v[132:133], v[130:131], s[46:47]
	v_mov_b32_e32 v136, v43
	v_pk_fma_f32 v[134:135], v[128:129], s[44:45], v[132:133]
	v_mov_b32_e32 v137, v43
	s_mov_b32 s52, s21
	s_mov_b32 s21, s28
	v_mul_f32_e32 v6, 0xbf7ba420, v70
	v_pk_add_f32 v[76:77], v[76:77], v[134:135]
	v_mov_b32_e32 v134, v68
	v_mov_b32_e32 v135, v68
	s_mov_b32 s46, s14
	s_mov_b32 s47, s2
	v_pk_mul_f32 v[138:139], v[136:137], s[20:21]
	v_add_f32_e32 v6, v17, v6
	v_mul_f32_e32 v8, 0x3f6eb680, v56
	v_pk_fma_f32 v[140:141], v[134:135], s[46:47], v[138:139]
	v_mov_b32_e32 v142, v47
	v_mov_b32_e32 v143, v47
	s_mov_b32 s54, s36
	s_mov_b32 s55, s12
	v_add_f32_e32 v8, v122, v8
	v_add_f32_e32 v6, v34, v6
	v_pk_add_f32 v[76:77], v[76:77], v[140:141]
	v_mov_b32_e32 v140, v60
	v_mov_b32_e32 v141, v60
	s_mov_b32 s20, s3
	s_mov_b32 s21, s6
	v_pk_mul_f32 v[144:145], v[142:143], s[54:55]
	v_add_f32_e32 v6, v6, v8
	v_mul_f32_e32 v8, 0xbf59a7d5, v58
	v_pk_fma_f32 v[146:147], v[140:141], s[20:21], v[144:145]
	v_add_f32_e32 v8, v114, v8
	v_pk_add_f32 v[76:77], v[76:77], v[146:147]
	s_mov_b32 s56, s28
	s_mov_b32 s57, s34
	v_add_f32_e32 v6, v6, v8
	v_mul_f32_e32 v8, 0x3f3d2fb0, v62
	ds_write2_b32 v4, v76, v77 offset0:2 offset1:3
	s_mov_b32 s54, s2
	s_mov_b32 s55, s15
	v_pk_mul_f32 v[76:77], v[110:111], s[56:57]
	s_mov_b32 s28, s30
	v_add_f32_e32 v8, v115, v8
	s_mov_b32 s34, s22
	s_mov_b32 s35, s6
	v_pk_mul_f32 v[110:111], v[112:113], s[28:29]
	v_pk_fma_f32 v[112:113], v[72:73], s[54:55], v[76:77]
	s_mov_b32 s53, s26
	v_pk_fma_f32 v[76:77], v[72:73], s[54:55], v[76:77] neg_lo:[0,0,1] neg_hi:[0,0,1]
	v_add_f32_e32 v6, v6, v8
	v_mul_f32_e32 v8, 0xbf1a4643, v64
	v_pk_add_f32 v[112:113], v[34:35], v[112:113]
	v_pk_fma_f32 v[146:147], v[104:105], s[34:35], v[110:111]
	s_mov_b32 s28, s15
	s_mov_b32 s29, s23
	v_pk_mul_f32 v[80:81], v[80:81], s[52:53]
	v_pk_add_f32 v[76:77], v[34:35], v[76:77]
	v_pk_fma_f32 v[110:111], v[104:105], s[34:35], v[110:111] neg_lo:[0,0,1] neg_hi:[0,0,1]
	v_add_f32_e32 v8, v116, v8
	v_pk_add_f32 v[112:113], v[112:113], v[146:147]
	v_pk_fma_f32 v[146:147], v[78:79], s[28:29], v[80:81]
	s_mov_b32 s52, s3
	s_mov_b32 s53, s14
	v_pk_mul_f32 v[84:85], v[84:85], s[36:37]
	s_mov_b32 s36, s37
	s_mov_b32 s37, s30
	v_pk_add_f32 v[76:77], v[76:77], v[110:111]
	v_fma_f32 v0, v70, s3, -v10
	v_add_f32_e32 v6, v6, v8
	v_mul_f32_e32 v8, 0x3ee437d1, v66
	v_pk_fma_f32 v[70:71], v[78:79], s[28:29], v[80:81] neg_lo:[0,0,1] neg_hi:[0,0,1]
	v_pk_add_f32 v[112:113], v[112:113], v[146:147]
	v_pk_fma_f32 v[146:147], v[82:83], s[52:53], v[84:85]
	s_mov_b32 s15, s22
	v_pk_mul_f32 v[124:125], v[124:125], s[36:37]
	s_mov_b32 s24, s12
	v_add_f32_e32 v8, v117, v8
	v_pk_add_f32 v[70:71], v[76:77], v[70:71]
	v_pk_fma_f32 v[76:77], v[82:83], s[52:53], v[84:85] neg_lo:[0,0,1] neg_hi:[0,0,1]
	v_pk_add_f32 v[112:113], v[112:113], v[146:147]
	v_pk_fma_f32 v[146:147], v[88:89], s[14:15], v[124:125]
	s_mov_b32 s30, s6
	s_mov_b32 s31, s2
	v_pk_mul_f32 v[130:131], v[130:131], s[24:25]
	v_add_f32_e32 v6, v6, v8
	v_mul_f32_e32 v8, 0xbe8c1d8e, v68
	v_pk_add_f32 v[70:71], v[70:71], v[76:77]
	v_pk_fma_f32 v[76:77], v[88:89], s[14:15], v[124:125] neg_lo:[0,0,1] neg_hi:[0,0,1]
	v_pk_add_f32 v[112:113], v[112:113], v[146:147]
	v_pk_fma_f32 v[146:147], v[128:129], s[30:31], v[130:131]
	s_mov_b32 s12, s7
	s_mov_b32 s13, s3
	v_pk_mul_f32 v[136:137], v[136:137], s[18:19]
	v_add_f32_e32 v8, v121, v8
	v_pk_add_f32 v[70:71], v[70:71], v[76:77]
	v_pk_fma_f32 v[76:77], v[128:129], s[30:31], v[130:131] neg_lo:[0,0,1] neg_hi:[0,0,1]
	v_pk_add_f32 v[112:113], v[112:113], v[146:147]
	v_pk_fma_f32 v[146:147], v[134:135], s[12:13], v[136:137]
	s_mov_b32 s6, s23
	v_pk_mul_f32 v[142:143], v[142:143], s[26:27]
	v_add_f32_e32 v6, v6, v8
	v_mul_f32_e32 v8, 0x3dbcf732, v60
	v_pk_add_f32 v[70:71], v[70:71], v[76:77]
	v_pk_fma_f32 v[76:77], v[134:135], s[12:13], v[136:137] neg_lo:[0,0,1] neg_hi:[0,0,1]
	v_pk_add_f32 v[112:113], v[112:113], v[146:147]
	v_pk_fma_f32 v[146:147], v[140:141], s[6:7], v[142:143]
	v_add_f32_e32 v8, v123, v8
	v_pk_add_f32 v[70:71], v[70:71], v[76:77]
	v_pk_fma_f32 v[76:77], v[140:141], s[6:7], v[142:143] neg_lo:[0,0,1] neg_hi:[0,0,1]
	v_pk_add_f32 v[112:113], v[112:113], v[146:147]
	v_add_f32_e32 v6, v6, v8
	v_pk_add_f32 v[70:71], v[70:71], v[76:77]
	ds_write2_b32 v4, v112, v113 offset0:4 offset1:5
	ds_write2_b32 v4, v6, v16 offset0:8 offset1:9
	;; [unrolled: 1-line block ×4, first 2 shown]
	v_pk_fma_f32 v[70:71], v[72:73], s[48:49], v[106:107] neg_lo:[0,0,1] neg_hi:[0,0,1]
	v_add_f32_e32 v0, v34, v0
	v_pk_add_f32 v[34:35], v[34:35], v[70:71]
	v_pk_fma_f32 v[70:71], v[104:105], s[50:51], v[108:109] neg_lo:[0,0,1] neg_hi:[0,0,1]
	v_sub_f32_e32 v8, v91, v90
	v_pk_add_f32 v[34:35], v[34:35], v[70:71]
	v_pk_fma_f32 v[70:71], v[78:79], s[38:39], v[74:75] neg_lo:[0,0,1] neg_hi:[0,0,1]
	v_add_f32_e32 v0, v0, v8
	v_sub_f32_e32 v8, v93, v92
	v_pk_add_f32 v[34:35], v[34:35], v[70:71]
	v_pk_fma_f32 v[70:71], v[82:83], s[40:41], v[86:87] neg_lo:[0,0,1] neg_hi:[0,0,1]
	v_add_f32_e32 v0, v0, v8
	;; [unrolled: 4-line block ×6, first 2 shown]
	v_sub_f32_e32 v8, v103, v102
	v_pk_add_f32 v[34:35], v[34:35], v[70:71]
	v_add_f32_e32 v8, v0, v8
	v_mov_b32_e32 v0, v35
	v_mov_b32_e32 v17, v34
	ds_write2_b32 v4, v35, v34 offset0:14 offset1:15
	ds_write_b32 v4, v8 offset:64
.LBB0_14:
	s_or_b64 exec, exec, s[16:17]
	v_lshlrev_b32_e32 v0, 2, v118
	v_add3_u32 v14, 0, v120, v0
	v_add_u32_e32 v0, 0, v0
	v_add_u32_e32 v18, v0, v120
	v_add_u32_e32 v4, 0x400, v18
	s_waitcnt lgkmcnt(0)
	s_barrier
	ds_read_b32 v10, v14
	ds_read2_b32 v[74:75], v18 offset0:187 offset1:238
	ds_read2_b32 v[70:71], v4 offset0:33 offset1:118
	;; [unrolled: 1-line block ×4, first 2 shown]
	v_cmp_gt_u32_e64 s[2:3], 34, v118
	s_and_saveexec_b64 s[6:7], s[2:3]
	s_cbranch_execz .LBB0_16
; %bb.15:
	v_add_u32_e32 v4, 0x200, v18
	ds_read2_b32 v[16:17], v4 offset0:25 offset1:212
	ds_read_b32 v23, v18 offset:2108
	s_waitcnt lgkmcnt(1)
	v_mov_b32_e32 v22, v17
.LBB0_16:
	s_or_b64 exec, exec, s[6:7]
	v_pk_add_f32 v[76:77], v[24:25], v[26:27]
	s_mov_b32 s14, 0xbf06c442
	v_pk_add_f32 v[54:55], v[76:77], v[54:55]
	s_mov_b32 s15, 0xbf4c4adb
	;; [unrolled: 2-line block ×3, first 2 shown]
	v_pk_add_f32 v[50:51], v[52:53], v[50:51]
	v_mov_b32_e32 v8, v37
	v_pk_add_f32 v[48:49], v[50:51], v[48:49]
	s_mov_b32 s12, 0xbf59a7d5
	v_mov_b32_e32 v26, v49
	s_mov_b32 s13, 0xbf1a4643
	s_mov_b32 s29, 0x3f763a35
	v_pk_add_f32 v[116:117], v[26:27], v[8:9]
	v_pk_mul_f32 v[48:49], v[28:29], s[14:15] op_sel_hi:[0,1]
	s_mov_b32 s16, 0x3ee437d1
	s_mov_b32 s17, 0xbe8c1d8e
	v_pk_fma_f32 v[36:37], v[116:117], s[12:13], v[48:49] op_sel:[1,0,0]
	v_pk_mul_f32 v[50:51], v[30:31], s[28:29] op_sel_hi:[0,1]
	s_mov_b32 s26, 0xbf7ee86f
	v_mul_f32_e32 v6, 0x3f6eb680, v57
	v_mul_f32_e32 v12, 0x3eb8f4ab, v30
	v_pk_add_f32 v[36:37], v[24:25], v[36:37] op_sel:[1,0]
	v_pk_fma_f32 v[52:53], v[56:57], s[16:17], v[50:51] op_sel:[1,0,0]
	s_mov_b32 s27, 0xbeb8f4ab
	s_mov_b32 s7, 0x3f6eb680
	v_mul_f32_e32 v20, 0xbf59a7d5, v59
	v_mul_f32_e32 v84, 0xbf06c442, v32
	v_pk_add_f32 v[36:37], v[36:37], v[52:53]
	s_mov_b32 s6, 0x3dbcf732
	v_pk_mul_f32 v[52:53], v[32:33], s[26:27] op_sel_hi:[0,1]
	v_pk_add_f32 v[104:105], v[6:7], v[12:13] neg_lo:[0,1] neg_hi:[0,1]
	v_pk_add_f32 v[106:107], v[6:7], v[12:13]
	v_mul_f32_e32 v86, 0x3f3d2fb0, v63
	v_mul_f32_e32 v88, 0x3f2c7751, v38
	v_pk_fma_f32 v[54:55], v[58:59], s[6:7], v[52:53] op_sel:[1,0,0]
	s_mov_b32 s30, 0x3f4c4adb
	s_mov_b32 s31, s14
	v_mov_b32_e32 v105, v106
	v_pk_add_f32 v[106:107], v[20:21], v[84:85] neg_lo:[0,1] neg_hi:[0,1]
	v_pk_add_f32 v[84:85], v[20:21], v[84:85]
	v_mul_f32_e32 v90, 0xbf1a4643, v65
	v_mul_f32_e32 v92, 0xbf4c4adb, v40
	v_pk_add_f32 v[36:37], v[36:37], v[54:55]
	s_mov_b32 s40, s13
	s_mov_b32 s41, s12
	v_pk_mul_f32 v[54:55], v[38:39], s[30:31] op_sel_hi:[0,1]
	v_mov_b32_e32 v107, v84
	v_pk_add_f32 v[84:85], v[86:87], v[88:89] neg_lo:[0,1] neg_hi:[0,1]
	v_pk_add_f32 v[86:87], v[86:87], v[88:89]
	v_mul_f32_e32 v94, 0x3ee437d1, v67
	v_mul_f32_e32 v96, 0x3f65296c, v44
	v_pk_fma_f32 v[76:77], v[62:63], s[40:41], v[54:55] op_sel:[1,0,0]
	s_mov_b32 s37, 0x3f7ee86f
	s_mov_b32 s36, s27
	v_mov_b32_e32 v85, v86
	v_pk_add_f32 v[86:87], v[90:91], v[92:93] neg_lo:[0,1] neg_hi:[0,1]
	v_pk_add_f32 v[88:89], v[90:91], v[92:93]
	v_mul_f32_e32 v4, 0xbe3c28d5, v28
	v_mul_f32_e32 v8, 0xbf7ba420, v117
	v_pk_add_f32 v[36:37], v[36:37], v[76:77]
	s_mov_b32 s42, s7
	s_mov_b32 s43, s6
	v_pk_mul_f32 v[76:77], v[40:41], s[36:37] op_sel_hi:[0,1]
	v_mov_b32_e32 v87, v88
	v_pk_add_f32 v[88:89], v[94:95], v[96:97] neg_lo:[0,1] neg_hi:[0,1]
	v_pk_add_f32 v[90:91], v[94:95], v[96:97]
	s_mov_b32 s22, 0xbe3c28d5
	s_mov_b32 s20, 0xbf7ba420
	v_pk_fma_f32 v[78:79], v[64:65], s[42:43], v[76:77] op_sel:[1,0,0]
	s_mov_b32 s23, 0xbf2c7751
	v_mov_b32_e32 v89, v90
	v_pk_add_f32 v[90:91], v[8:9], v[4:5] neg_lo:[0,1] neg_hi:[0,1]
	v_pk_add_f32 v[92:93], v[8:9], v[4:5]
	s_mov_b32 s21, 0x3f3d2fb0
	v_pk_add_f32 v[36:37], v[36:37], v[78:79]
	v_pk_mul_f32 v[78:79], v[44:45], s[22:23] op_sel_hi:[0,1]
	v_mov_b32_e32 v91, v92
	s_mov_b32 s18, 0x3f2c7751
	v_pk_fma_f32 v[80:81], v[66:67], s[20:21], v[78:79] op_sel:[1,0,0]
	s_mov_b32 s19, s22
	v_pk_add_f32 v[90:91], v[24:25], v[90:91] op_sel:[1,0]
	v_pk_add_f32 v[36:37], v[36:37], v[80:81]
	s_mov_b32 s44, s21
	s_mov_b32 s45, s20
	v_pk_mul_f32 v[80:81], v[42:43], s[18:19] op_sel_hi:[0,1]
	v_pk_add_f32 v[90:91], v[90:91], v[104:105]
	s_mov_b32 s34, 0xbf763a35
	v_pk_fma_f32 v[82:83], v[68:69], s[44:45], v[80:81] op_sel:[1,0,0]
	s_mov_b32 s35, s28
	v_pk_add_f32 v[90:91], v[90:91], v[106:107]
	v_mul_f32_e32 v26, 0xbe8c1d8e, v69
	v_mul_f32_e32 v98, 0xbf763a35, v42
	v_pk_add_f32 v[36:37], v[36:37], v[82:83]
	s_mov_b32 s46, s17
	s_mov_b32 s47, s16
	v_pk_mul_f32 v[82:83], v[46:47], s[34:35] op_sel_hi:[0,1]
	v_pk_add_f32 v[84:85], v[90:91], v[84:85]
	v_pk_fma_f32 v[100:101], v[60:61], s[46:47], v[82:83] op_sel:[1,0,0]
	v_pk_add_f32 v[84:85], v[84:85], v[86:87]
	v_pk_add_f32 v[86:87], v[26:27], v[98:99] neg_lo:[0,1] neg_hi:[0,1]
	v_pk_add_f32 v[26:27], v[26:27], v[98:99]
	v_pk_add_f32 v[36:37], v[36:37], v[100:101]
	v_mul_f32_e32 v100, 0x3dbcf732, v61
	v_mul_f32_e32 v102, 0x3f7ee86f, v46
	v_pk_add_f32 v[84:85], v[84:85], v[88:89]
	v_mov_b32_e32 v87, v26
	v_pk_add_f32 v[26:27], v[84:85], v[86:87]
	v_pk_add_f32 v[84:85], v[100:101], v[102:103] neg_lo:[0,1] neg_hi:[0,1]
	v_pk_add_f32 v[86:87], v[100:101], v[102:103]
	s_mov_b32 s24, 0x3eb8f4ab
	v_mov_b32_e32 v85, v86
	v_pk_add_f32 v[26:27], v[26:27], v[84:85]
	s_waitcnt lgkmcnt(0)
	s_barrier
	s_and_saveexec_b64 s[38:39], s[0:1]
	s_cbranch_execz .LBB0_18
; %bb.17:
	v_mov_b32_e32 v84, v57
	v_mov_b32_e32 v85, v57
	v_pk_mul_f32 v[112:113], v[56:57], s[16:17] op_sel:[1,0]
	v_mov_b32_e32 v56, v57
	v_mov_b32_e32 v57, v30
	s_mov_b32 s0, s21
	s_mov_b32 s1, s23
	v_pk_mul_f32 v[126:127], v[56:57], s[0:1]
	v_mov_b32_e32 v86, v59
	v_mov_b32_e32 v17, v126
	;; [unrolled: 1-line block ×3, first 2 shown]
	v_pk_mul_f32 v[108:109], v[58:59], s[6:7] op_sel:[1,0]
	v_pk_fma_f32 v[56:57], v[56:57], s[0:1], v[16:17] neg_lo:[1,0,0] neg_hi:[1,0,0]
	v_mov_b32_e32 v58, v59
	v_mov_b32_e32 v59, v32
	s_mov_b32 s1, 0xbf65296c
	s_mov_b32 s0, s16
	v_mov_b32_e32 v90, v63
	v_mov_b32_e32 v91, v63
	v_pk_mul_f32 v[106:107], v[62:63], s[40:41] op_sel:[1,0]
	v_add_f32_e32 v8, v126, v127
	v_pk_mul_f32 v[126:127], v[58:59], s[0:1]
	v_mov_b32_e32 v62, v63
	v_mov_b32_e32 v63, v38
	s_mov_b32 s40, s6
	s_mov_b32 s41, s26
	v_mov_b32_e32 v17, v126
	v_add_f32_e32 v12, v126, v127
	v_pk_mul_f32 v[126:127], v[62:63], s[40:41]
	v_pk_fma_f32 v[58:59], v[58:59], s[0:1], v[16:17] neg_lo:[1,0,0] neg_hi:[1,0,0]
	v_mov_b32_e32 v17, v126
	v_mov_b32_e32 v94, v65
	;; [unrolled: 1-line block ×3, first 2 shown]
	v_pk_mul_f32 v[100:101], v[64:65], s[42:43] op_sel:[1,0]
	v_pk_fma_f32 v[62:63], v[62:63], s[40:41], v[16:17] neg_lo:[1,0,0] neg_hi:[1,0,0]
	v_mov_b32_e32 v64, v65
	v_mov_b32_e32 v65, v40
	s_mov_b32 s40, s17
	s_mov_b32 s41, s34
	v_mov_b32_e32 v129, 0x3f6eb680
	v_mov_b32_e32 v128, v11
	v_add_f32_e32 v20, v126, v127
	v_pk_mul_f32 v[126:127], v[64:65], s[40:41]
	v_pk_mul_f32 v[132:133], v[116:117], v[128:129]
	v_mov_b32_e32 v17, v126
	v_fmac_f32_e32 v133, 0xbeb8f4ab, v28
	v_mov_b32_e32 v104, v67
	v_mov_b32_e32 v105, v67
	v_pk_mul_f32 v[98:99], v[66:67], s[20:21] op_sel:[1,0]
	v_pk_fma_f32 v[64:65], v[64:65], s[40:41], v[16:17] neg_lo:[1,0,0] neg_hi:[1,0,0]
	v_mov_b32_e32 v66, v67
	v_mov_b32_e32 v67, v44
	s_mov_b32 s40, s13
	s_mov_b32 s41, s15
	v_mov_b32_e32 v58, v1
	v_add_f32_e32 v1, v25, v133
	v_pk_mul_f32 v[92:93], v[60:61], s[46:47] op_sel:[1,0]
	v_mul_f32_e32 v125, 0xbeb8f4ab, v28
	v_add_f32_e32 v60, v126, v127
	v_pk_mul_f32 v[126:127], v[66:67], s[40:41]
	v_pk_add_f32 v[130:131], v[116:117], v[128:129]
	v_mov_b32_e32 v124, v7
	v_add_f32_e32 v1, v1, v8
	v_mov_b32_e32 v114, v117
	v_mov_b32_e32 v115, v117
	v_pk_mul_f32 v[122:123], v[116:117], s[12:13] op_sel:[1,0]
	v_mov_b32_e32 v17, v126
	v_pk_add_f32 v[6:7], v[130:131], v[124:125]
	v_pk_fma_f32 v[116:117], v[116:117], v[128:129], v[124:125] neg_lo:[0,0,1] neg_hi:[0,0,1]
	v_add_f32_e32 v1, v1, v12
	v_mov_b32_e32 v102, v69
	v_mov_b32_e32 v103, v69
	v_pk_mul_f32 v[96:97], v[68:69], s[44:45] op_sel:[1,0]
	v_pk_fma_f32 v[66:67], v[66:67], s[40:41], v[16:17] neg_lo:[1,0,0] neg_hi:[1,0,0]
	v_mov_b32_e32 v68, v69
	v_mov_b32_e32 v69, v42
	s_mov_b32 s40, s12
	s_mov_b32 s41, s14
	v_mov_b32_e32 v7, v117
	v_add_f32_e32 v1, v1, v20
	v_add_f32_e32 v121, v126, v127
	v_pk_mul_f32 v[126:127], v[68:69], s[40:41]
	v_pk_add_f32 v[6:7], v[6:7], v[24:25]
	v_mov_b32_e32 v56, v5
	v_add_f32_e32 v1, v1, v60
	v_mov_b32_e32 v17, v126
	v_pk_add_f32 v[4:5], v[56:57], v[6:7]
	v_add_f32_e32 v1, v1, v121
	v_add_f32_e32 v6, v126, v127
	v_pk_fma_f32 v[68:69], v[68:69], s[40:41], v[16:17] neg_lo:[1,0,0] neg_hi:[1,0,0]
	v_pk_add_f32 v[4:5], v[58:59], v[4:5]
	v_mov_b32_e32 v62, v21
	v_add_f32_e32 v8, v1, v6
	v_mov_b32_e32 v6, v61
	v_mov_b32_e32 v7, v46
	s_mov_b32 s40, s20
	s_mov_b32 s41, s22
	v_pk_add_f32 v[4:5], v[62:63], v[4:5]
	v_mov_b32_e32 v64, v19
	v_mov_b32_e32 v68, v13
	v_pk_mul_f32 v[12:13], v[6:7], s[40:41]
	v_pk_add_f32 v[4:5], v[64:65], v[4:5]
	v_mov_b32_e32 v66, v15
	v_mov_b32_e32 v1, v12
	v_pk_add_f32 v[4:5], v[66:67], v[4:5]
	v_pk_fma_f32 v[6:7], v[6:7], s[40:41], v[0:1] neg_lo:[1,0,0] neg_hi:[1,0,0]
	v_mov_b32_e32 v29, v28
	v_mov_b32_e32 v45, v44
	v_pk_add_f32 v[4:5], v[68:69], v[4:5]
	v_mov_b32_e32 v6, v9
	s_mov_b32 s0, s23
	s_mov_b32 s52, s29
	;; [unrolled: 1-line block ×3, first 2 shown]
	v_mov_b32_e32 v31, v30
	v_pk_add_f32 v[4:5], v[6:7], v[4:5]
	v_add_f32_e32 v1, v12, v13
	v_pk_mul_f32 v[6:7], v[28:29], s[0:1]
	s_mov_b32 s42, s26
	s_mov_b32 s43, s15
	v_pk_mul_f32 v[64:65], v[44:45], s[52:53]
	s_mov_b32 s52, s21
	s_mov_b32 s53, s16
	v_mov_b32_e32 v33, v32
	v_mov_b32_e32 v88, v25
	;; [unrolled: 1-line block ×3, first 2 shown]
	v_add_f32_e32 v11, v8, v1
	s_mov_b32 s40, s6
	s_mov_b32 s41, s13
	v_pk_mul_f32 v[8:9], v[30:31], s[42:43]
	s_mov_b32 s45, 0x3e3c28d5
	s_mov_b32 s44, s15
	v_pk_fma_f32 v[68:69], v[114:115], s[52:53], v[6:7] neg_lo:[0,0,1] neg_hi:[0,0,1]
	v_mov_b32_e32 v39, v38
	v_pk_fma_f32 v[12:13], v[84:85], s[40:41], v[8:9] neg_lo:[0,0,1] neg_hi:[0,0,1]
	s_mov_b32 s42, s13
	s_mov_b32 s43, s20
	v_pk_mul_f32 v[20:21], v[32:33], s[44:45]
	s_mov_b32 s23, s29
	v_pk_add_f32 v[68:69], v[88:89], v[68:69]
	v_mov_b32_e32 v41, v40
	v_pk_fma_f32 v[24:25], v[86:87], s[42:43], v[20:21] neg_lo:[0,0,1] neg_hi:[0,0,1]
	s_mov_b32 s44, s20
	s_mov_b32 s45, s17
	v_pk_mul_f32 v[56:57], v[38:39], s[22:23]
	s_mov_b32 s48, 0x3f06c442
	s_mov_b32 s49, s18
	v_pk_add_f32 v[12:13], v[68:69], v[12:13]
	v_mov_b32_e32 v110, v61
	v_mov_b32_e32 v111, v61
	v_pk_fma_f32 v[58:59], v[90:91], s[44:45], v[56:57] neg_lo:[0,0,1] neg_hi:[0,0,1]
	s_mov_b32 s46, s12
	s_mov_b32 s47, s21
	v_pk_mul_f32 v[60:61], v[40:41], s[48:49]
	v_pk_add_f32 v[12:13], v[12:13], v[24:25]
	v_mov_b32_e32 v43, v42
	v_pk_fma_f32 v[62:63], v[94:95], s[46:47], v[60:61] neg_lo:[0,0,1] neg_hi:[0,0,1]
	s_mov_b32 s50, s17
	s_mov_b32 s51, s7
	v_pk_add_f32 v[12:13], v[12:13], v[58:59]
	s_mov_b32 s56, s28
	s_mov_b32 s57, s26
	v_pk_fma_f32 v[6:7], v[114:115], s[52:53], v[6:7]
	v_pk_fma_f32 v[66:67], v[104:105], s[50:51], v[64:65] neg_lo:[0,0,1] neg_hi:[0,0,1]
	v_pk_add_f32 v[12:13], v[12:13], v[62:63]
	s_mov_b32 s54, s16
	s_mov_b32 s55, s6
	v_pk_mul_f32 v[24:25], v[42:43], s[56:57]
	v_pk_fma_f32 v[8:9], v[84:85], s[40:41], v[8:9]
	v_pk_add_f32 v[6:7], v[88:89], v[6:7]
	v_mov_b32_e32 v47, v46
	v_pk_add_f32 v[12:13], v[12:13], v[66:67]
	v_pk_fma_f32 v[58:59], v[102:103], s[54:55], v[24:25] neg_lo:[0,0,1] neg_hi:[0,0,1]
	s_mov_b32 s25, s14
	v_pk_fma_f32 v[20:21], v[86:87], s[42:43], v[20:21]
	v_pk_add_f32 v[6:7], v[6:7], v[8:9]
	v_pk_add_f32 v[12:13], v[12:13], v[58:59]
	s_mov_b32 s56, s7
	s_mov_b32 s57, s12
	v_pk_mul_f32 v[58:59], v[46:47], s[24:25]
	v_pk_fma_f32 v[56:57], v[90:91], s[44:45], v[56:57]
	v_pk_add_f32 v[6:7], v[6:7], v[20:21]
	v_pk_fma_f32 v[62:63], v[110:111], s[56:57], v[58:59] neg_lo:[0,0,1] neg_hi:[0,0,1]
	v_pk_fma_f32 v[60:61], v[94:95], s[46:47], v[60:61]
	v_pk_add_f32 v[6:7], v[6:7], v[56:57]
	v_pk_add_f32 v[12:13], v[12:13], v[62:63]
	v_pk_fma_f32 v[62:63], v[104:105], s[50:51], v[64:65]
	v_pk_add_f32 v[6:7], v[6:7], v[60:61]
	v_pk_fma_f32 v[8:9], v[102:103], s[54:55], v[24:25]
	v_pk_add_f32 v[6:7], v[6:7], v[62:63]
	s_mov_b32 s40, s26
	v_pk_add_f32 v[6:7], v[6:7], v[8:9]
	v_pk_fma_f32 v[8:9], v[110:111], s[56:57], v[58:59]
	s_mov_b32 s41, s34
	s_mov_b32 s28, s29
	;; [unrolled: 1-line block ×4, first 2 shown]
	v_pk_add_f32 v[6:7], v[6:7], v[8:9]
	v_pk_mul_f32 v[8:9], v[28:29], s[40:41]
	s_mov_b32 s23, s48
	v_pk_mul_f32 v[28:29], v[32:33], s[28:29]
	s_mov_b32 s29, s16
	;; [unrolled: 2-line block ×3, first 2 shown]
	s_mov_b32 s16, s6
	s_mov_b32 s34, s20
	;; [unrolled: 1-line block ×3, first 2 shown]
	v_pk_mul_f32 v[20:21], v[30:31], s[22:23]
	v_pk_fma_f32 v[60:61], v[114:115], s[16:17], v[8:9] neg_lo:[0,0,1] neg_hi:[0,0,1]
	v_pk_fma_f32 v[24:25], v[84:85], s[34:35], v[20:21] neg_lo:[0,0,1] neg_hi:[0,0,1]
	s_mov_b32 s40, s17
	s_mov_b32 s41, s21
	v_pk_add_f32 v[60:61], v[88:89], v[60:61]
	v_pk_fma_f32 v[30:31], v[86:87], s[40:41], v[28:29] neg_lo:[0,0,1] neg_hi:[0,0,1]
	s_mov_b32 s28, s7
	s_mov_b32 s0, s1
	;; [unrolled: 1-line block ×3, first 2 shown]
	v_pk_add_f32 v[24:25], v[60:61], v[24:25]
	v_pk_fma_f32 v[38:39], v[90:91], s[28:29], v[32:33] neg_lo:[0,0,1] neg_hi:[0,0,1]
	s_mov_b32 s25, s20
	v_pk_mul_f32 v[40:41], v[40:41], s[0:1]
	s_mov_b32 s36, s14
	v_pk_add_f32 v[24:25], v[24:25], v[30:31]
	v_pk_fma_f32 v[56:57], v[94:95], s[24:25], v[40:41] neg_lo:[0,0,1] neg_hi:[0,0,1]
	s_mov_b32 s0, s12
	s_mov_b32 s1, s6
	v_pk_mul_f32 v[44:45], v[44:45], s[36:37]
	v_pk_add_f32 v[24:25], v[24:25], v[38:39]
	s_mov_b32 s31, s27
	v_pk_fma_f32 v[8:9], v[114:115], s[16:17], v[8:9]
	v_pk_fma_f32 v[58:59], v[104:105], s[0:1], v[44:45] neg_lo:[0,0,1] neg_hi:[0,0,1]
	v_pk_add_f32 v[24:25], v[24:25], v[56:57]
	s_mov_b32 s6, s13
	v_pk_mul_f32 v[30:31], v[42:43], s[30:31]
	v_pk_fma_f32 v[20:21], v[84:85], s[34:35], v[20:21]
	v_pk_add_f32 v[8:9], v[88:89], v[8:9]
	v_pk_add_f32 v[24:25], v[24:25], v[58:59]
	v_pk_fma_f32 v[38:39], v[102:103], s[6:7], v[30:31] neg_lo:[0,0,1] neg_hi:[0,0,1]
	s_mov_b32 s19, s15
	v_pk_fma_f32 v[28:29], v[86:87], s[40:41], v[28:29]
	v_pk_add_f32 v[8:9], v[8:9], v[20:21]
	v_pk_add_f32 v[24:25], v[24:25], v[38:39]
	s_mov_b32 s12, s21
	v_pk_mul_f32 v[38:39], v[46:47], s[18:19]
	v_pk_fma_f32 v[32:33], v[90:91], s[28:29], v[32:33]
	v_pk_add_f32 v[8:9], v[8:9], v[28:29]
	v_pk_fma_f32 v[42:43], v[110:111], s[12:13], v[38:39] neg_lo:[0,0,1] neg_hi:[0,0,1]
	v_pk_fma_f32 v[40:41], v[94:95], s[24:25], v[40:41]
	v_pk_add_f32 v[8:9], v[8:9], v[32:33]
	v_pk_add_f32 v[24:25], v[24:25], v[42:43]
	v_pk_fma_f32 v[42:43], v[104:105], s[0:1], v[44:45]
	v_pk_add_f32 v[8:9], v[8:9], v[40:41]
	v_pk_fma_f32 v[20:21], v[102:103], s[6:7], v[30:31]
	v_pk_add_f32 v[8:9], v[8:9], v[42:43]
	v_pk_add_f32 v[28:29], v[112:113], v[50:51] neg_lo:[0,1] neg_hi:[0,1]
	v_pk_add_f32 v[8:9], v[8:9], v[20:21]
	v_pk_fma_f32 v[20:21], v[110:111], s[12:13], v[38:39]
	v_lshlrev_b32_e32 v1, 6, v118
	v_pk_add_f32 v[8:9], v[8:9], v[20:21]
	v_pk_add_f32 v[20:21], v[122:123], v[48:49] neg_lo:[0,1] neg_hi:[0,1]
	v_add3_u32 v15, v0, v1, v120
	v_pk_add_f32 v[20:21], v[88:89], v[20:21]
	s_nop 0
	v_pk_add_f32 v[20:21], v[20:21], v[28:29]
	v_pk_add_f32 v[28:29], v[108:109], v[52:53] neg_lo:[0,1] neg_hi:[0,1]
	s_nop 0
	v_pk_add_f32 v[20:21], v[20:21], v[28:29]
	v_pk_add_f32 v[28:29], v[106:107], v[54:55] neg_lo:[0,1] neg_hi:[0,1]
	;; [unrolled: 3-line block ×6, first 2 shown]
	s_nop 0
	v_pk_add_f32 v[20:21], v[20:21], v[28:29]
	ds_write2_b32 v15, v4, v5 offset1:1
	ds_write2_b32 v15, v12, v13 offset0:2 offset1:3
	ds_write2_b32 v15, v24, v25 offset0:4 offset1:5
	;; [unrolled: 1-line block ×7, first 2 shown]
	ds_write_b32 v15, v11 offset:64
.LBB0_18:
	s_or_b64 exec, exec, s[38:39]
	v_add_u32_e32 v6, 0x400, v18
	s_waitcnt lgkmcnt(0)
	s_barrier
	ds_read_b32 v15, v14
	ds_read2_b32 v[8:9], v18 offset0:187 offset1:238
	ds_read2_b32 v[4:5], v6 offset0:33 offset1:118
	;; [unrolled: 1-line block ×4, first 2 shown]
	s_and_saveexec_b64 s[0:1], s[2:3]
	s_cbranch_execz .LBB0_20
; %bb.19:
	v_add_u32_e32 v11, 0x200, v18
	ds_read2_b32 v[12:13], v11 offset0:25 offset1:212
	ds_read_b32 v37, v18 offset:2108
	s_waitcnt lgkmcnt(1)
	v_mov_b32_e32 v27, v12
	v_mov_b32_e32 v36, v13
.LBB0_20:
	s_or_b64 exec, exec, s[0:1]
	s_movk_i32 s0, 0xf1
	v_mul_lo_u16_sdwa v11, v118, s0 dst_sel:DWORD dst_unused:UNUSED_PAD src0_sel:BYTE_0 src1_sel:DWORD
	v_add_u16_e32 v19, 51, v118
	v_lshrrev_b16_e32 v11, 12, v11
	v_mul_lo_u16_sdwa v20, v19, s0 dst_sel:DWORD dst_unused:UNUSED_PAD src0_sel:BYTE_0 src1_sel:DWORD
	v_mul_lo_u16_e32 v12, 17, v11
	v_lshrrev_b16_e32 v30, 12, v20
	v_sub_u16_e32 v12, v118, v12
	v_mov_b32_e32 v13, 4
	v_mul_lo_u16_e32 v20, 17, v30
	v_lshlrev_b32_sdwa v17, v13, v12 dst_sel:DWORD dst_unused:UNUSED_PAD src0_sel:DWORD src1_sel:BYTE_0
	v_sub_u16_e32 v31, v19, v20
	v_lshlrev_b32_sdwa v19, v13, v31 dst_sel:DWORD dst_unused:UNUSED_PAD src0_sel:DWORD src1_sel:BYTE_0
	global_load_dwordx4 v[38:41], v17, s[4:5]
	global_load_dwordx4 v[42:45], v19, s[4:5]
	v_add_u16_e32 v17, 0x66, v118
	v_mul_lo_u16_sdwa v19, v17, s0 dst_sel:DWORD dst_unused:UNUSED_PAD src0_sel:BYTE_0 src1_sel:DWORD
	v_lshrrev_b16_e32 v54, 12, v19
	v_mul_lo_u16_e32 v19, 17, v54
	v_add_u16_e32 v20, 0x99, v118
	v_sub_u16_e32 v55, v17, v19
	v_mul_lo_u16_sdwa v17, v20, s0 dst_sel:DWORD dst_unused:UNUSED_PAD src0_sel:BYTE_0 src1_sel:DWORD
	v_lshlrev_b32_sdwa v19, v13, v55 dst_sel:DWORD dst_unused:UNUSED_PAD src0_sel:DWORD src1_sel:BYTE_0
	v_lshrrev_b16_e32 v17, 12, v17
	global_load_dwordx4 v[46:49], v19, s[4:5]
	v_mul_lo_u16_e32 v19, 17, v17
	v_sub_u16_e32 v19, v20, v19
	v_lshlrev_b32_sdwa v13, v13, v19 dst_sel:DWORD dst_unused:UNUSED_PAD src0_sel:DWORD src1_sel:BYTE_0
	global_load_dwordx4 v[50:53], v13, s[4:5]
	s_movk_i32 s6, 0xcc
	v_mov_b32_e32 v29, 2
	v_mad_u32_u24 v11, v11, s6, 0
	v_lshlrev_b32_sdwa v12, v29, v12 dst_sel:DWORD dst_unused:UNUSED_PAD src0_sel:DWORD src1_sel:BYTE_0
	v_add3_u32 v24, v11, v12, v120
	s_waitcnt lgkmcnt(0)
	s_barrier
	s_waitcnt vmcnt(3)
	v_mul_f32_e32 v26, v8, v39
	v_mul_f32_e32 v28, v5, v41
	;; [unrolled: 1-line block ×4, first 2 shown]
	s_waitcnt vmcnt(2)
	v_mul_f32_e32 v13, v9, v43
	v_mul_f32_e32 v39, v75, v43
	;; [unrolled: 1-line block ×3, first 2 shown]
	v_fmac_f32_e32 v26, v74, v38
	v_fmac_f32_e32 v28, v71, v40
	v_mul_f32_e32 v41, v72, v45
	v_fma_f32 v32, v8, v38, -v32
	s_waitcnt vmcnt(1)
	v_mul_f32_e32 v11, v4, v47
	v_mul_f32_e32 v43, v70, v47
	;; [unrolled: 1-line block ×3, first 2 shown]
	v_fma_f32 v33, v5, v40, -v33
	s_waitcnt vmcnt(0)
	v_mul_f32_e32 v20, v36, v51
	v_mul_f32_e32 v47, v22, v51
	v_fmac_f32_e32 v13, v75, v42
	v_fma_f32 v8, v9, v42, -v39
	v_fmac_f32_e32 v25, v72, v44
	v_add_f32_e32 v9, v26, v28
	v_mul_f32_e32 v12, v7, v49
	v_mul_f32_e32 v21, v37, v53
	;; [unrolled: 1-line block ×3, first 2 shown]
	v_fma_f32 v5, v7, v48, -v45
	v_fmac_f32_e32 v20, v22, v50
	v_fma_f32 v22, v36, v50, -v47
	v_add_f32_e32 v7, v10, v26
	v_sub_f32_e32 v36, v32, v33
	v_add_f32_e32 v38, v13, v25
	v_fmac_f32_e32 v10, -0.5, v9
	v_fma_f32 v6, v6, v44, -v41
	v_fmac_f32_e32 v21, v23, v52
	v_fma_f32 v23, v37, v52, -v49
	v_add_f32_e32 v37, v34, v13
	v_add_f32_e32 v7, v7, v28
	v_fma_f32 v34, -0.5, v38, v34
	v_fmamk_f32 v38, v36, 0xbf5db3d7, v10
	v_fmac_f32_e32 v10, 0x3f5db3d7, v36
	v_fmac_f32_e32 v11, v70, v46
	;; [unrolled: 1-line block ×3, first 2 shown]
	v_sub_f32_e32 v39, v8, v6
	ds_write2_b32 v24, v7, v38 offset1:17
	ds_write_b32 v24, v10 offset:136
	v_mad_u32_u24 v7, v30, s6, 0
	v_lshlrev_b32_sdwa v10, v29, v31 dst_sel:DWORD dst_unused:UNUSED_PAD src0_sel:DWORD src1_sel:BYTE_0
	v_fma_f32 v4, v4, v46, -v43
	v_add_f32_e32 v41, v11, v12
	v_add_f32_e32 v9, v37, v25
	v_fmamk_f32 v36, v39, 0xbf5db3d7, v34
	v_add3_u32 v30, v7, v10, v120
	v_add_f32_e32 v40, v35, v11
	v_sub_f32_e32 v42, v4, v5
	v_fmac_f32_e32 v35, -0.5, v41
	v_fmac_f32_e32 v34, 0x3f5db3d7, v39
	ds_write2_b32 v30, v9, v36 offset1:17
	ds_write_b32 v30, v34 offset:136
	v_mad_u32_u24 v7, v54, s6, 0
	v_lshlrev_b32_sdwa v9, v29, v55 dst_sel:DWORD dst_unused:UNUSED_PAD src0_sel:DWORD src1_sel:BYTE_0
	v_add_f32_e32 v37, v40, v12
	v_fmamk_f32 v39, v42, 0xbf5db3d7, v35
	v_add3_u32 v31, v7, v9, v120
	v_fmac_f32_e32 v35, 0x3f5db3d7, v42
	ds_write2_b32 v31, v37, v39 offset1:17
	ds_write_b32 v31, v35 offset:136
	s_and_saveexec_b64 s[0:1], s[2:3]
	s_cbranch_execz .LBB0_22
; %bb.21:
	v_add_f32_e32 v7, v20, v21
	v_fma_f32 v7, -0.5, v7, v16
	v_sub_f32_e32 v9, v22, v23
	v_fmamk_f32 v10, v9, 0x3f5db3d7, v7
	v_fmac_f32_e32 v7, 0xbf5db3d7, v9
	v_add_f32_e32 v9, v16, v20
	v_mad_u32_u24 v16, v17, s6, 0
	v_lshlrev_b32_sdwa v29, v29, v19 dst_sel:DWORD dst_unused:UNUSED_PAD src0_sel:DWORD src1_sel:BYTE_0
	v_add_f32_e32 v9, v9, v21
	v_add3_u32 v16, v16, v29, v120
	ds_write2_b32 v16, v9, v7 offset1:17
	ds_write_b32 v16, v10 offset:136
.LBB0_22:
	s_or_b64 exec, exec, s[0:1]
	v_add_f32_e32 v7, v15, v32
	v_add_f32_e32 v16, v7, v33
	;; [unrolled: 1-line block ×3, first 2 shown]
	v_fmac_f32_e32 v15, -0.5, v7
	v_sub_f32_e32 v7, v26, v28
	v_fmamk_f32 v26, v7, 0x3f5db3d7, v15
	v_fmac_f32_e32 v15, 0xbf5db3d7, v7
	v_add_f32_e32 v7, v0, v8
	v_add_f32_e32 v28, v7, v6
	;; [unrolled: 1-line block ×3, first 2 shown]
	v_fma_f32 v29, -0.5, v6, v0
	v_sub_f32_e32 v0, v13, v25
	v_fmamk_f32 v25, v0, 0x3f5db3d7, v29
	v_fmac_f32_e32 v29, 0xbf5db3d7, v0
	v_add_f32_e32 v0, v1, v4
	v_add_f32_e32 v32, v0, v5
	v_add_f32_e32 v0, v4, v5
	v_fmac_f32_e32 v1, -0.5, v0
	v_sub_f32_e32 v0, v11, v12
	v_fmamk_f32 v33, v0, 0x3f5db3d7, v1
	v_fmac_f32_e32 v1, 0xbf5db3d7, v0
	s_waitcnt lgkmcnt(0)
	s_barrier
	ds_read_b32 v0, v14
	ds_read2_b32 v[12:13], v18 offset0:51 offset1:102
	ds_read2_b32 v[6:7], v18 offset0:153 offset1:204
	v_add_u32_e32 v4, 0x200, v18
	v_add_u32_e32 v10, 0x400, v18
	ds_read2_b32 v[4:5], v4 offset0:127 offset1:178
	ds_read2_b32 v[8:9], v10 offset0:101 offset1:152
	;; [unrolled: 1-line block ×3, first 2 shown]
	s_waitcnt lgkmcnt(0)
	s_barrier
	ds_write2_b32 v24, v16, v26 offset1:17
	ds_write_b32 v24, v15 offset:136
	ds_write2_b32 v30, v28, v25 offset1:17
	ds_write_b32 v30, v29 offset:136
	;; [unrolled: 2-line block ×3, first 2 shown]
	s_and_saveexec_b64 s[0:1], s[2:3]
	s_cbranch_execz .LBB0_24
; %bb.23:
	v_add_f32_e32 v15, v22, v23
	v_add_f32_e32 v1, v27, v22
	v_fmac_f32_e32 v27, -0.5, v15
	v_sub_f32_e32 v15, v20, v21
	s_movk_i32 s2, 0xcc
	v_mov_b32_e32 v20, 2
	v_mad_u32_u24 v17, v17, s2, 0
	v_lshlrev_b32_sdwa v19, v20, v19 dst_sel:DWORD dst_unused:UNUSED_PAD src0_sel:DWORD src1_sel:BYTE_0
	v_add_f32_e32 v1, v1, v23
	v_fmamk_f32 v16, v15, 0x3f5db3d7, v27
	v_add3_u32 v17, v17, v19, v120
	v_fmamk_f32 v15, v15, 0xbf5db3d7, v27
	ds_write2_b32 v17, v1, v16 offset1:17
	ds_write_b32 v17, v15 offset:136
.LBB0_24:
	s_or_b64 exec, exec, s[0:1]
	s_waitcnt lgkmcnt(0)
	s_barrier
	s_and_saveexec_b64 s[0:1], vcc
	s_cbranch_execz .LBB0_26
; %bb.25:
	v_mul_u32_u24_e32 v1, 10, v118
	v_lshlrev_b32_e32 v1, 3, v1
	global_load_dwordx4 v[20:23], v1, s[4:5] offset:272
	global_load_dwordx4 v[24:27], v1, s[4:5] offset:336
	;; [unrolled: 1-line block ×5, first 2 shown]
	v_add_u32_e32 v43, 0x400, v18
	ds_read2_b32 v[16:17], v18 offset0:51 offset1:102
	ds_read_b32 v1, v14
	ds_read2_b32 v[14:15], v18 offset0:153 offset1:204
	v_add_u32_e32 v45, 0x200, v18
	ds_read2_b32 v[50:51], v43 offset0:203 offset1:254
	ds_read2_b32 v[52:53], v43 offset0:101 offset1:152
	ds_read2_b32 v[54:55], v45 offset0:127 offset1:178
	v_mad_u64_u32 v[18:19], s[0:1], s8, v119, 0
	v_mov_b32_e32 v56, v19
	v_mov_b32_e32 v42, v13
	v_mad_u64_u32 v[56:57], s[0:1], s9, v119, v[56:57]
	s_waitcnt lgkmcnt(2)
	v_mov_b32_e32 v60, v51
	v_lshl_add_u64 v[40:41], v[2:3], 3, s[10:11]
	v_mov_b32_e32 v19, v56
	v_mov_b32_e32 v56, v17
	s_waitcnt lgkmcnt(1)
	v_mov_b32_e32 v62, v53
	s_waitcnt lgkmcnt(0)
	v_mov_b32_e32 v64, v55
	v_mov_b32_e32 v44, v9
	;; [unrolled: 1-line block ×6, first 2 shown]
	v_lshl_add_u64 v[18:19], v[18:19], 3, v[40:41]
	s_mov_b32 s16, 0x3f575c64
	s_mov_b32 s17, 0xbf0a6770
	;; [unrolled: 1-line block ×28, first 2 shown]
	s_waitcnt vmcnt(4)
	v_mul_f32_e32 v66, v12, v20
	v_mul_f32_e32 v3, v12, v21
	s_waitcnt vmcnt(3)
	v_pk_mul_f32 v[12:13], v[60:61], v[26:27] op_sel_hi:[0,1]
	v_pk_mul_f32 v[50:51], v[50:51], v[24:25] op_sel_hi:[0,1]
	v_mov_b32_e32 v60, v23
	v_mov_b32_e32 v61, v22
	v_pk_mul_f32 v[22:23], v[42:43], v[22:23] op_sel_hi:[0,1]
	s_waitcnt vmcnt(2)
	v_pk_mul_f32 v[42:43], v[62:63], v[30:31] op_sel_hi:[0,1]
	s_waitcnt vmcnt(1)
	;; [unrolled: 2-line block ×3, first 2 shown]
	v_pk_mul_f32 v[62:63], v[64:65], v[38:39] op_sel_hi:[0,1]
	v_fmac_f32_e32 v66, v16, v21
	v_fma_f32 v67, v16, v20, -v3
	v_pk_fma_f32 v[64:65], v[10:11], v[24:25], v[50:51] op_sel:[0,0,1] op_sel_hi:[0,1,0]
	v_pk_fma_f32 v[24:25], v[10:11], v[24:25], v[50:51] op_sel:[0,0,1] op_sel_hi:[0,1,0] neg_lo:[1,0,0] neg_hi:[1,0,0]
	v_pk_fma_f32 v[50:51], v[56:57], v[60:61], v[22:23] op_sel_hi:[0,1,1]
	v_pk_fma_f32 v[22:23], v[56:57], v[60:61], v[22:23] op_sel_hi:[0,1,1] neg_lo:[0,0,1] neg_hi:[0,0,1]
	v_pk_mul_f32 v[58:59], v[58:59], v[34:35] op_sel_hi:[0,1]
	v_pk_fma_f32 v[56:57], v[44:45], v[30:31], v[42:43] op_sel:[0,0,1] op_sel_hi:[0,1,0]
	v_pk_fma_f32 v[42:43], v[44:45], v[30:31], v[42:43] op_sel:[0,0,1] op_sel_hi:[0,1,0] neg_lo:[1,0,0] neg_hi:[1,0,0]
	v_pk_fma_f32 v[44:45], v[6:7], v[32:33], v[14:15] op_sel:[0,0,1] op_sel_hi:[0,1,0]
	v_pk_fma_f32 v[60:61], v[6:7], v[32:33], v[14:15] op_sel:[0,0,1] op_sel_hi:[0,1,0] neg_lo:[1,0,0] neg_hi:[1,0,0]
	v_mov_b32_e32 v6, v50
	v_mov_b32_e32 v7, v23
	v_pk_add_f32 v[30:31], v[0:1], v[66:67]
	v_pk_mul_f32 v[54:55], v[54:55], v[36:37] op_sel_hi:[0,1]
	v_pk_fma_f32 v[70:71], v[46:47], v[34:35], v[58:59] op_sel:[0,0,1] op_sel_hi:[0,1,0]
	v_pk_fma_f32 v[46:47], v[46:47], v[34:35], v[58:59] op_sel:[0,0,1] op_sel_hi:[0,1,0] neg_lo:[1,0,0] neg_hi:[1,0,0]
	v_mov_b32_e32 v10, v44
	v_mov_b32_e32 v11, v61
	v_pk_add_f32 v[6:7], v[30:31], v[6:7]
	v_pk_mul_f32 v[52:53], v[52:53], v[28:29] op_sel_hi:[0,1]
	v_pk_fma_f32 v[58:59], v[48:49], v[38:39], v[62:63] op_sel:[0,0,1] op_sel_hi:[0,1,0]
	v_pk_fma_f32 v[48:49], v[48:49], v[38:39], v[62:63] op_sel:[0,0,1] op_sel_hi:[0,1,0] neg_lo:[1,0,0] neg_hi:[1,0,0]
	v_pk_fma_f32 v[62:63], v[4:5], v[36:37], v[54:55] op_sel:[0,0,1] op_sel_hi:[0,1,0]
	v_pk_fma_f32 v[54:55], v[4:5], v[36:37], v[54:55] op_sel:[0,0,1] op_sel_hi:[0,1,0] neg_lo:[1,0,0] neg_hi:[1,0,0]
	v_mov_b32_e32 v14, v70
	v_mov_b32_e32 v15, v47
	v_pk_add_f32 v[6:7], v[6:7], v[10:11]
	v_pk_fma_f32 v[68:69], v[8:9], v[28:29], v[52:53] op_sel:[0,0,1] op_sel_hi:[0,1,0]
	v_pk_fma_f32 v[52:53], v[8:9], v[28:29], v[52:53] op_sel:[0,0,1] op_sel_hi:[0,1,0] neg_lo:[1,0,0] neg_hi:[1,0,0]
	v_mov_b32_e32 v28, v62
	v_mov_b32_e32 v29, v55
	v_pk_add_f32 v[6:7], v[6:7], v[14:15]
	;; [unrolled: 5-line block ×3, first 2 shown]
	v_mov_b32_e32 v12, v68
	v_mov_b32_e32 v13, v53
	v_pk_add_f32 v[6:7], v[6:7], v[26:27]
	v_mov_b32_e32 v8, v56
	v_mov_b32_e32 v9, v43
	v_pk_add_f32 v[6:7], v[12:13], v[6:7]
	;; [unrolled: 3-line block ×4, first 2 shown]
	v_add_u32_e32 v7, 0x132, v119
	v_pk_add_f32 v[2:3], v[2:3], v[4:5]
	v_add_u32_e32 v5, 51, v119
	global_store_dwordx2 v[18:19], v[2:3], off
	v_mad_u64_u32 v[2:3], s[0:1], s8, v5, 0
	v_mov_b32_e32 v4, v3
	v_mad_u64_u32 v[4:5], s[0:1], s9, v5, v[4:5]
	v_mov_b32_e32 v3, v4
	v_add_u32_e32 v5, 0x66, v119
	v_lshl_add_u64 v[72:73], v[2:3], 3, v[40:41]
	v_mad_u64_u32 v[2:3], s[0:1], s8, v5, 0
	v_mov_b32_e32 v4, v3
	v_mad_u64_u32 v[4:5], s[0:1], s9, v5, v[4:5]
	v_mov_b32_e32 v3, v4
	v_add_u32_e32 v5, 0x99, v119
	v_lshl_add_u64 v[74:75], v[2:3], 3, v[40:41]
	;; [unrolled: 6-line block ×4, first 2 shown]
	v_mad_u64_u32 v[2:3], s[0:1], s8, v5, 0
	v_mov_b32_e32 v4, v3
	v_mad_u64_u32 v[4:5], s[0:1], s9, v5, v[4:5]
	v_mov_b32_e32 v3, v4
	;; [unrolled: 2-line block ×3, first 2 shown]
	v_mad_u64_u32 v[6:7], s[0:1], s9, v7, v[6:7]
	v_add_u32_e32 v9, 0x165, v119
	v_mov_b32_e32 v5, v6
	v_mad_u64_u32 v[6:7], s[0:1], s8, v9, 0
	v_mov_b32_e32 v8, v7
	v_mad_u64_u32 v[8:9], s[0:1], s9, v9, v[8:9]
	v_add_u32_e32 v11, 0x198, v119
	v_mov_b32_e32 v7, v8
	v_mad_u64_u32 v[8:9], s[0:1], s8, v11, 0
	v_mov_b32_e32 v10, v9
	;; [unrolled: 5-line block ×4, first 2 shown]
	v_mad_u64_u32 v[18:19], s[0:1], s9, v19, v[18:19]
	v_pk_add_f32 v[26:27], v[66:67], v[16:17]
	v_pk_add_f32 v[16:17], v[66:67], v[16:17] neg_lo:[0,1] neg_hi:[0,1]
	v_mov_b32_e32 v13, v18
	v_mov_b32_e32 v27, v16
	;; [unrolled: 1-line block ×4, first 2 shown]
	v_pk_add_f32 v[32:33], v[16:17], v[20:21] op_sel:[0,1] neg_lo:[0,1] neg_hi:[0,1]
	v_pk_add_f32 v[16:17], v[18:19], v[20:21] op_sel_hi:[0,1]
	v_pk_add_f32 v[30:31], v[50:51], v[64:65]
	v_pk_add_f32 v[18:19], v[50:51], v[64:65] neg_lo:[0,1] neg_hi:[0,1]
	v_pk_add_f32 v[34:35], v[44:45], v[56:57]
	v_pk_add_f32 v[20:21], v[44:45], v[56:57] neg_lo:[0,1] neg_hi:[0,1]
	v_lshl_add_u64 v[2:3], v[2:3], 3, v[40:41]
	v_lshl_add_u64 v[4:5], v[4:5], 3, v[40:41]
	;; [unrolled: 1-line block ×6, first 2 shown]
	v_mov_b32_e32 v31, v18
	v_pk_add_f32 v[36:37], v[22:23], v[24:25] neg_lo:[0,1] neg_hi:[0,1]
	v_pk_add_f32 v[18:19], v[22:23], v[24:25]
	v_mov_b32_e32 v35, v20
	v_pk_add_f32 v[40:41], v[60:61], v[42:43] neg_lo:[0,1] neg_hi:[0,1]
	v_pk_add_f32 v[20:21], v[60:61], v[42:43]
	v_pk_add_f32 v[38:39], v[70:71], v[68:69]
	v_pk_add_f32 v[22:23], v[70:71], v[68:69] neg_lo:[0,1] neg_hi:[0,1]
	v_pk_add_f32 v[42:43], v[62:63], v[58:59]
	v_pk_add_f32 v[24:25], v[62:63], v[58:59] neg_lo:[0,1] neg_hi:[0,1]
	v_mov_b32_e32 v16, v32
	v_mov_b32_e32 v39, v22
	v_pk_add_f32 v[44:45], v[46:47], v[52:53] neg_lo:[0,1] neg_hi:[0,1]
	v_pk_add_f32 v[22:23], v[46:47], v[52:53]
	v_mov_b32_e32 v43, v24
	v_pk_add_f32 v[46:47], v[54:55], v[48:49] neg_lo:[0,1] neg_hi:[0,1]
	v_pk_add_f32 v[24:25], v[54:55], v[48:49]
	v_pk_mul_f32 v[48:49], v[26:27], s[16:17]
	v_mov_b32_e32 v18, v37
	v_pk_mul_f32 v[50:51], v[30:31], s[2:3]
	v_pk_fma_f32 v[58:59], v[32:33], s[12:13], v[48:49] neg_lo:[1,0,0] neg_hi:[1,0,0]
	v_pk_fma_f32 v[60:61], v[16:17], s[12:13], v[48:49]
	v_pk_fma_f32 v[62:63], v[36:37], s[24:25], v[50:51] op_sel:[1,0,0] neg_lo:[1,0,0] neg_hi:[1,0,0]
	v_mov_b32_e32 v59, v61
	v_pk_fma_f32 v[64:65], v[18:19], s[24:25], v[50:51]
	v_mov_b32_e32 v20, v41
	v_pk_mul_f32 v[52:53], v[34:35], s[4:5]
	s_mov_b32 s0, s5
	s_mov_b32 s1, s4
	v_pk_add_f32 v[58:59], v[0:1], v[58:59]
	v_mov_b32_e32 v63, v65
	v_pk_add_f32 v[58:59], v[58:59], v[62:63]
	v_pk_fma_f32 v[62:63], v[40:41], s[0:1], v[52:53] op_sel:[1,0,0] neg_lo:[1,0,0] neg_hi:[1,0,0]
	v_pk_fma_f32 v[66:67], v[20:21], s[0:1], v[52:53]
	v_pk_fma_f32 v[48:49], v[16:17], s[12:13], v[48:49] neg_lo:[0,0,1] neg_hi:[0,0,1]
	v_mov_b32_e32 v22, v45
	v_pk_mul_f32 v[54:55], v[38:39], s[10:11]
	v_mov_b32_e32 v63, v67
	v_mov_b32_e32 v61, v49
	v_pk_fma_f32 v[50:51], v[18:19], s[24:25], v[50:51] neg_lo:[0,0,1] neg_hi:[0,0,1]
	v_pk_add_f32 v[58:59], v[58:59], v[62:63]
	v_pk_fma_f32 v[62:63], v[44:45], s[6:7], v[54:55] op_sel:[1,0,0] neg_lo:[1,0,0] neg_hi:[1,0,0]
	v_pk_fma_f32 v[68:69], v[22:23], s[6:7], v[54:55]
	v_pk_add_f32 v[48:49], v[0:1], v[60:61]
	v_mov_b32_e32 v65, v51
	v_pk_fma_f32 v[50:51], v[20:21], s[0:1], v[52:53] neg_lo:[0,0,1] neg_hi:[0,0,1]
	v_mov_b32_e32 v24, v47
	v_pk_mul_f32 v[56:57], v[42:43], s[14:15]
	s_mov_b32 s8, s15
	s_mov_b32 s9, s14
	v_mov_b32_e32 v63, v69
	v_pk_add_f32 v[48:49], v[48:49], v[64:65]
	v_mov_b32_e32 v67, v51
	v_pk_fma_f32 v[50:51], v[22:23], s[6:7], v[54:55] neg_lo:[0,0,1] neg_hi:[0,0,1]
	v_pk_add_f32 v[58:59], v[58:59], v[62:63]
	v_pk_fma_f32 v[62:63], v[46:47], s[8:9], v[56:57] op_sel:[1,0,0] neg_lo:[1,0,0] neg_hi:[1,0,0]
	v_pk_fma_f32 v[70:71], v[24:25], s[8:9], v[56:57]
	v_pk_add_f32 v[48:49], v[48:49], v[66:67]
	v_mov_b32_e32 v69, v51
	v_pk_fma_f32 v[50:51], v[24:25], s[8:9], v[56:57] neg_lo:[0,0,1] neg_hi:[0,0,1]
	v_mov_b32_e32 v63, v71
	v_pk_add_f32 v[48:49], v[48:49], v[68:69]
	v_mov_b32_e32 v71, v51
	v_pk_add_f32 v[48:49], v[48:49], v[70:71]
	global_store_dwordx2 v[72:73], v[48:49], off
	v_pk_mul_f32 v[48:49], v[26:27], s[2:3]
	v_pk_add_f32 v[58:59], v[58:59], v[62:63]
	v_pk_mul_f32 v[50:51], v[30:31], s[10:11]
	v_pk_fma_f32 v[60:61], v[32:33], s[24:25], v[48:49] neg_lo:[1,0,0] neg_hi:[1,0,0]
	v_pk_fma_f32 v[62:63], v[16:17], s[24:25], v[48:49]
	v_pk_fma_f32 v[64:65], v[36:37], s[6:7], v[50:51] op_sel:[1,0,0] neg_lo:[1,0,0] neg_hi:[1,0,0]
	v_mov_b32_e32 v61, v63
	v_pk_fma_f32 v[66:67], v[18:19], s[6:7], v[50:51]
	v_pk_mul_f32 v[52:53], v[34:35], s[30:31]
	v_pk_add_f32 v[60:61], v[0:1], v[60:61]
	v_mov_b32_e32 v65, v67
	v_pk_add_f32 v[60:61], v[60:61], v[64:65]
	v_pk_fma_f32 v[64:65], v[40:41], s[28:29], v[52:53] op_sel:[1,0,0] neg_lo:[1,0,0] neg_hi:[1,0,0]
	v_pk_fma_f32 v[68:69], v[20:21], s[28:29], v[52:53]
	v_pk_fma_f32 v[48:49], v[16:17], s[24:25], v[48:49] neg_lo:[0,0,1] neg_hi:[0,0,1]
	v_pk_mul_f32 v[54:55], v[38:39], s[26:27]
	v_mov_b32_e32 v65, v69
	v_mov_b32_e32 v63, v49
	v_pk_fma_f32 v[50:51], v[18:19], s[6:7], v[50:51] neg_lo:[0,0,1] neg_hi:[0,0,1]
	v_pk_add_f32 v[60:61], v[60:61], v[64:65]
	v_pk_fma_f32 v[64:65], v[44:45], s[22:23], v[54:55] op_sel:[1,0,0] neg_lo:[1,0,0] neg_hi:[1,0,0]
	v_pk_fma_f32 v[70:71], v[22:23], s[22:23], v[54:55]
	v_pk_add_f32 v[48:49], v[0:1], v[62:63]
	v_mov_b32_e32 v67, v51
	v_pk_fma_f32 v[50:51], v[20:21], s[28:29], v[52:53] neg_lo:[0,0,1] neg_hi:[0,0,1]
	v_pk_mul_f32 v[56:57], v[42:43], s[20:21]
	v_mov_b32_e32 v65, v71
	v_pk_add_f32 v[48:49], v[48:49], v[66:67]
	v_mov_b32_e32 v69, v51
	v_pk_fma_f32 v[50:51], v[22:23], s[22:23], v[54:55] neg_lo:[0,0,1] neg_hi:[0,0,1]
	v_pk_add_f32 v[60:61], v[60:61], v[64:65]
	v_pk_fma_f32 v[64:65], v[46:47], s[18:19], v[56:57] op_sel:[1,0,0] neg_lo:[1,0,0] neg_hi:[1,0,0]
	v_pk_fma_f32 v[72:73], v[24:25], s[18:19], v[56:57]
	v_pk_add_f32 v[48:49], v[48:49], v[68:69]
	v_mov_b32_e32 v71, v51
	v_pk_fma_f32 v[50:51], v[24:25], s[18:19], v[56:57] neg_lo:[0,0,1] neg_hi:[0,0,1]
	v_mov_b32_e32 v65, v73
	v_pk_add_f32 v[48:49], v[48:49], v[70:71]
	v_mov_b32_e32 v73, v51
	v_pk_add_f32 v[48:49], v[48:49], v[72:73]
	global_store_dwordx2 v[74:75], v[48:49], off
	v_pk_mul_f32 v[48:49], v[26:27], s[4:5]
	v_pk_mul_f32 v[54:55], v[30:31], s[30:31]
	v_pk_fma_f32 v[50:51], v[32:33], s[0:1], v[48:49] neg_lo:[1,0,0] neg_hi:[1,0,0]
	v_pk_fma_f32 v[52:53], v[16:17], s[0:1], v[48:49]
	v_pk_fma_f32 v[56:57], v[36:37], s[28:29], v[54:55] op_sel:[1,0,0] neg_lo:[1,0,0] neg_hi:[1,0,0]
	v_mov_b32_e32 v51, v53
	v_pk_fma_f32 v[62:63], v[18:19], s[28:29], v[54:55]
	v_pk_add_f32 v[50:51], v[0:1], v[50:51]
	v_mov_b32_e32 v57, v63
	s_mov_b32 s3, 0x3f68dda4
	v_pk_add_f32 v[50:51], v[50:51], v[56:57]
	v_pk_mul_f32 v[56:57], v[34:35], s[2:3]
	s_mov_b32 s24, s3
	v_pk_add_f32 v[60:61], v[60:61], v[64:65]
	v_pk_fma_f32 v[64:65], v[40:41], s[24:25], v[56:57] op_sel:[1,0,0] neg_lo:[1,0,0] neg_hi:[1,0,0]
	v_pk_fma_f32 v[66:67], v[20:21], s[24:25], v[56:57]
	v_pk_fma_f32 v[48:49], v[16:17], s[0:1], v[48:49] neg_lo:[0,0,1] neg_hi:[0,0,1]
	v_mov_b32_e32 v65, v67
	v_pk_add_f32 v[50:51], v[50:51], v[64:65]
	v_pk_mul_f32 v[64:65], v[38:39], s[16:17]
	v_mov_b32_e32 v53, v49
	v_pk_fma_f32 v[68:69], v[44:45], s[12:13], v[64:65] op_sel:[1,0,0] neg_lo:[1,0,0] neg_hi:[1,0,0]
	v_pk_fma_f32 v[70:71], v[22:23], s[12:13], v[64:65]
	v_pk_add_f32 v[48:49], v[0:1], v[52:53]
	v_pk_fma_f32 v[52:53], v[18:19], s[28:29], v[54:55] neg_lo:[0,0,1] neg_hi:[0,0,1]
	v_mov_b32_e32 v69, v71
	v_mov_b32_e32 v63, v53
	v_pk_fma_f32 v[52:53], v[20:21], s[24:25], v[56:57] neg_lo:[0,0,1] neg_hi:[0,0,1]
	v_pk_add_f32 v[50:51], v[50:51], v[68:69]
	v_pk_mul_f32 v[68:69], v[42:43], s[10:11]
	v_pk_add_f32 v[48:49], v[48:49], v[62:63]
	v_mov_b32_e32 v67, v53
	v_pk_fma_f32 v[52:53], v[22:23], s[12:13], v[64:65] neg_lo:[0,0,1] neg_hi:[0,0,1]
	v_pk_fma_f32 v[72:73], v[46:47], s[6:7], v[68:69] op_sel:[1,0,0] neg_lo:[1,0,0] neg_hi:[1,0,0]
	v_pk_fma_f32 v[74:75], v[24:25], s[6:7], v[68:69]
	v_pk_add_f32 v[48:49], v[48:49], v[66:67]
	v_mov_b32_e32 v71, v53
	v_pk_fma_f32 v[52:53], v[24:25], s[6:7], v[68:69] neg_lo:[0,0,1] neg_hi:[0,0,1]
	v_mov_b32_e32 v73, v75
	v_pk_add_f32 v[48:49], v[48:49], v[70:71]
	v_mov_b32_e32 v75, v53
	v_pk_add_f32 v[48:49], v[48:49], v[74:75]
	global_store_dwordx2 v[28:29], v[48:49], off
	v_pk_mul_f32 v[28:29], v[26:27], s[10:11]
	v_pk_mul_f32 v[54:55], v[30:31], s[26:27]
	v_pk_fma_f32 v[48:49], v[32:33], s[6:7], v[28:29] neg_lo:[1,0,0] neg_hi:[1,0,0]
	v_pk_fma_f32 v[52:53], v[16:17], s[6:7], v[28:29]
	v_pk_fma_f32 v[56:57], v[36:37], s[22:23], v[54:55] op_sel:[1,0,0] neg_lo:[1,0,0] neg_hi:[1,0,0]
	v_mov_b32_e32 v49, v53
	v_pk_fma_f32 v[62:63], v[18:19], s[22:23], v[54:55]
	v_pk_add_f32 v[48:49], v[0:1], v[48:49]
	v_mov_b32_e32 v57, v63
	v_pk_add_f32 v[48:49], v[48:49], v[56:57]
	v_pk_mul_f32 v[56:57], v[34:35], s[16:17]
	v_pk_fma_f32 v[28:29], v[16:17], s[6:7], v[28:29] neg_lo:[0,0,1] neg_hi:[0,0,1]
	v_pk_fma_f32 v[64:65], v[40:41], s[12:13], v[56:57] op_sel:[1,0,0] neg_lo:[1,0,0] neg_hi:[1,0,0]
	v_pk_fma_f32 v[66:67], v[20:21], s[12:13], v[56:57]
	v_mov_b32_e32 v53, v29
	v_mov_b32_e32 v65, v67
	v_pk_add_f32 v[48:49], v[48:49], v[64:65]
	v_pk_mul_f32 v[64:65], v[38:39], s[14:15]
	v_pk_add_f32 v[28:29], v[0:1], v[52:53]
	v_pk_fma_f32 v[68:69], v[44:45], s[8:9], v[64:65] op_sel:[1,0,0] neg_lo:[1,0,0] neg_hi:[1,0,0]
	v_pk_fma_f32 v[70:71], v[22:23], s[8:9], v[64:65]
	v_pk_fma_f32 v[52:53], v[18:19], s[22:23], v[54:55] neg_lo:[0,0,1] neg_hi:[0,0,1]
	v_mov_b32_e32 v69, v71
	v_mov_b32_e32 v63, v53
	v_pk_fma_f32 v[52:53], v[20:21], s[12:13], v[56:57] neg_lo:[0,0,1] neg_hi:[0,0,1]
	v_pk_add_f32 v[48:49], v[48:49], v[68:69]
	v_pk_mul_f32 v[68:69], v[42:43], s[2:3]
	v_pk_add_f32 v[28:29], v[28:29], v[62:63]
	v_mov_b32_e32 v67, v53
	v_pk_fma_f32 v[52:53], v[22:23], s[8:9], v[64:65] neg_lo:[0,0,1] neg_hi:[0,0,1]
	v_pk_add_f32 v[50:51], v[50:51], v[72:73]
	v_pk_fma_f32 v[72:73], v[46:47], s[24:25], v[68:69] op_sel:[1,0,0] neg_lo:[1,0,0] neg_hi:[1,0,0]
	v_pk_fma_f32 v[74:75], v[24:25], s[24:25], v[68:69]
	v_pk_add_f32 v[28:29], v[28:29], v[66:67]
	v_mov_b32_e32 v71, v53
	v_pk_fma_f32 v[52:53], v[24:25], s[24:25], v[68:69] neg_lo:[0,0,1] neg_hi:[0,0,1]
	v_mov_b32_e32 v73, v75
	v_pk_add_f32 v[28:29], v[28:29], v[70:71]
	v_mov_b32_e32 v75, v53
	v_pk_add_f32 v[28:29], v[28:29], v[74:75]
	global_store_dwordx2 v[14:15], v[28:29], off
	v_pk_mul_f32 v[14:15], v[26:27], s[14:15]
	v_pk_mul_f32 v[30:31], v[30:31], s[20:21]
	v_pk_fma_f32 v[26:27], v[32:33], s[8:9], v[14:15] neg_lo:[1,0,0] neg_hi:[1,0,0]
	v_pk_fma_f32 v[28:29], v[16:17], s[8:9], v[14:15]
	v_pk_fma_f32 v[32:33], v[36:37], s[18:19], v[30:31] op_sel:[1,0,0] neg_lo:[1,0,0] neg_hi:[1,0,0]
	v_mov_b32_e32 v27, v29
	v_pk_fma_f32 v[36:37], v[18:19], s[18:19], v[30:31]
	v_pk_add_f32 v[26:27], v[0:1], v[26:27]
	v_mov_b32_e32 v33, v37
	v_pk_add_f32 v[26:27], v[26:27], v[32:33]
	v_pk_mul_f32 v[32:33], v[34:35], s[10:11]
	v_pk_fma_f32 v[14:15], v[16:17], s[8:9], v[14:15] neg_lo:[0,0,1] neg_hi:[0,0,1]
	v_pk_fma_f32 v[34:35], v[40:41], s[6:7], v[32:33] op_sel:[1,0,0] neg_lo:[1,0,0] neg_hi:[1,0,0]
	v_pk_fma_f32 v[40:41], v[20:21], s[6:7], v[32:33]
	v_mov_b32_e32 v29, v15
	v_mov_b32_e32 v35, v41
	v_pk_add_f32 v[26:27], v[26:27], v[34:35]
	v_pk_mul_f32 v[34:35], v[38:39], s[2:3]
	v_pk_fma_f32 v[14:15], v[18:19], s[18:19], v[30:31] neg_lo:[0,0,1] neg_hi:[0,0,1]
	v_pk_fma_f32 v[38:39], v[44:45], s[24:25], v[34:35] op_sel:[1,0,0] neg_lo:[1,0,0] neg_hi:[1,0,0]
	v_pk_fma_f32 v[44:45], v[22:23], s[24:25], v[34:35]
	v_pk_add_f32 v[0:1], v[0:1], v[28:29]
	v_mov_b32_e32 v39, v45
	v_mov_b32_e32 v37, v15
	v_pk_fma_f32 v[14:15], v[20:21], s[6:7], v[32:33] neg_lo:[0,0,1] neg_hi:[0,0,1]
	v_pk_add_f32 v[26:27], v[26:27], v[38:39]
	v_pk_mul_f32 v[38:39], v[42:43], s[4:5]
	v_pk_add_f32 v[0:1], v[0:1], v[36:37]
	v_mov_b32_e32 v41, v15
	v_pk_fma_f32 v[14:15], v[22:23], s[24:25], v[34:35] neg_lo:[0,0,1] neg_hi:[0,0,1]
	v_pk_fma_f32 v[42:43], v[46:47], s[0:1], v[38:39] op_sel:[1,0,0] neg_lo:[1,0,0] neg_hi:[1,0,0]
	v_pk_fma_f32 v[46:47], v[24:25], s[0:1], v[38:39]
	v_pk_add_f32 v[0:1], v[0:1], v[40:41]
	v_mov_b32_e32 v45, v15
	v_pk_fma_f32 v[14:15], v[24:25], s[0:1], v[38:39] neg_lo:[0,0,1] neg_hi:[0,0,1]
	v_mov_b32_e32 v43, v47
	v_pk_add_f32 v[0:1], v[0:1], v[44:45]
	v_mov_b32_e32 v47, v15
	v_pk_add_f32 v[0:1], v[0:1], v[46:47]
	v_pk_add_f32 v[48:49], v[48:49], v[72:73]
	;; [unrolled: 1-line block ×3, first 2 shown]
	global_store_dwordx2 v[2:3], v[0:1], off
	global_store_dwordx2 v[4:5], v[26:27], off
	;; [unrolled: 1-line block ×6, first 2 shown]
.LBB0_26:
	s_endpgm
	.section	.rodata,"a",@progbits
	.p2align	6, 0x0
	.amdhsa_kernel fft_rtc_back_len561_factors_17_3_11_wgs_255_tpt_51_halfLds_sp_ip_CI_sbrr_dirReg
		.amdhsa_group_segment_fixed_size 0
		.amdhsa_private_segment_fixed_size 0
		.amdhsa_kernarg_size 88
		.amdhsa_user_sgpr_count 2
		.amdhsa_user_sgpr_dispatch_ptr 0
		.amdhsa_user_sgpr_queue_ptr 0
		.amdhsa_user_sgpr_kernarg_segment_ptr 1
		.amdhsa_user_sgpr_dispatch_id 0
		.amdhsa_user_sgpr_kernarg_preload_length 0
		.amdhsa_user_sgpr_kernarg_preload_offset 0
		.amdhsa_user_sgpr_private_segment_size 0
		.amdhsa_uses_dynamic_stack 0
		.amdhsa_enable_private_segment 0
		.amdhsa_system_sgpr_workgroup_id_x 1
		.amdhsa_system_sgpr_workgroup_id_y 0
		.amdhsa_system_sgpr_workgroup_id_z 0
		.amdhsa_system_sgpr_workgroup_info 0
		.amdhsa_system_vgpr_workitem_id 0
		.amdhsa_next_free_vgpr 148
		.amdhsa_next_free_sgpr 58
		.amdhsa_accum_offset 148
		.amdhsa_reserve_vcc 1
		.amdhsa_float_round_mode_32 0
		.amdhsa_float_round_mode_16_64 0
		.amdhsa_float_denorm_mode_32 3
		.amdhsa_float_denorm_mode_16_64 3
		.amdhsa_dx10_clamp 1
		.amdhsa_ieee_mode 1
		.amdhsa_fp16_overflow 0
		.amdhsa_tg_split 0
		.amdhsa_exception_fp_ieee_invalid_op 0
		.amdhsa_exception_fp_denorm_src 0
		.amdhsa_exception_fp_ieee_div_zero 0
		.amdhsa_exception_fp_ieee_overflow 0
		.amdhsa_exception_fp_ieee_underflow 0
		.amdhsa_exception_fp_ieee_inexact 0
		.amdhsa_exception_int_div_zero 0
	.end_amdhsa_kernel
	.text
.Lfunc_end0:
	.size	fft_rtc_back_len561_factors_17_3_11_wgs_255_tpt_51_halfLds_sp_ip_CI_sbrr_dirReg, .Lfunc_end0-fft_rtc_back_len561_factors_17_3_11_wgs_255_tpt_51_halfLds_sp_ip_CI_sbrr_dirReg
                                        ; -- End function
	.section	.AMDGPU.csdata,"",@progbits
; Kernel info:
; codeLenInByte = 11524
; NumSgprs: 64
; NumVgprs: 148
; NumAgprs: 0
; TotalNumVgprs: 148
; ScratchSize: 0
; MemoryBound: 0
; FloatMode: 240
; IeeeMode: 1
; LDSByteSize: 0 bytes/workgroup (compile time only)
; SGPRBlocks: 7
; VGPRBlocks: 18
; NumSGPRsForWavesPerEU: 64
; NumVGPRsForWavesPerEU: 148
; AccumOffset: 148
; Occupancy: 3
; WaveLimiterHint : 1
; COMPUTE_PGM_RSRC2:SCRATCH_EN: 0
; COMPUTE_PGM_RSRC2:USER_SGPR: 2
; COMPUTE_PGM_RSRC2:TRAP_HANDLER: 0
; COMPUTE_PGM_RSRC2:TGID_X_EN: 1
; COMPUTE_PGM_RSRC2:TGID_Y_EN: 0
; COMPUTE_PGM_RSRC2:TGID_Z_EN: 0
; COMPUTE_PGM_RSRC2:TIDIG_COMP_CNT: 0
; COMPUTE_PGM_RSRC3_GFX90A:ACCUM_OFFSET: 36
; COMPUTE_PGM_RSRC3_GFX90A:TG_SPLIT: 0
	.text
	.p2alignl 6, 3212836864
	.fill 256, 4, 3212836864
	.type	__hip_cuid_26ab6a63b7cb85a1,@object ; @__hip_cuid_26ab6a63b7cb85a1
	.section	.bss,"aw",@nobits
	.globl	__hip_cuid_26ab6a63b7cb85a1
__hip_cuid_26ab6a63b7cb85a1:
	.byte	0                               ; 0x0
	.size	__hip_cuid_26ab6a63b7cb85a1, 1

	.ident	"AMD clang version 19.0.0git (https://github.com/RadeonOpenCompute/llvm-project roc-6.4.0 25133 c7fe45cf4b819c5991fe208aaa96edf142730f1d)"
	.section	".note.GNU-stack","",@progbits
	.addrsig
	.addrsig_sym __hip_cuid_26ab6a63b7cb85a1
	.amdgpu_metadata
---
amdhsa.kernels:
  - .agpr_count:     0
    .args:
      - .actual_access:  read_only
        .address_space:  global
        .offset:         0
        .size:           8
        .value_kind:     global_buffer
      - .offset:         8
        .size:           8
        .value_kind:     by_value
      - .actual_access:  read_only
        .address_space:  global
        .offset:         16
        .size:           8
        .value_kind:     global_buffer
      - .actual_access:  read_only
        .address_space:  global
        .offset:         24
        .size:           8
        .value_kind:     global_buffer
      - .offset:         32
        .size:           8
        .value_kind:     by_value
      - .actual_access:  read_only
        .address_space:  global
        .offset:         40
        .size:           8
        .value_kind:     global_buffer
      - .actual_access:  read_only
        .address_space:  global
        .offset:         48
        .size:           8
        .value_kind:     global_buffer
      - .offset:         56
        .size:           4
        .value_kind:     by_value
      - .actual_access:  read_only
        .address_space:  global
        .offset:         64
        .size:           8
        .value_kind:     global_buffer
      - .actual_access:  read_only
        .address_space:  global
        .offset:         72
        .size:           8
        .value_kind:     global_buffer
      - .address_space:  global
        .offset:         80
        .size:           8
        .value_kind:     global_buffer
    .group_segment_fixed_size: 0
    .kernarg_segment_align: 8
    .kernarg_segment_size: 88
    .language:       OpenCL C
    .language_version:
      - 2
      - 0
    .max_flat_workgroup_size: 255
    .name:           fft_rtc_back_len561_factors_17_3_11_wgs_255_tpt_51_halfLds_sp_ip_CI_sbrr_dirReg
    .private_segment_fixed_size: 0
    .sgpr_count:     64
    .sgpr_spill_count: 0
    .symbol:         fft_rtc_back_len561_factors_17_3_11_wgs_255_tpt_51_halfLds_sp_ip_CI_sbrr_dirReg.kd
    .uniform_work_group_size: 1
    .uses_dynamic_stack: false
    .vgpr_count:     148
    .vgpr_spill_count: 0
    .wavefront_size: 64
amdhsa.target:   amdgcn-amd-amdhsa--gfx950
amdhsa.version:
  - 1
  - 2
...

	.end_amdgpu_metadata
